;; amdgpu-corpus repo=ROCm/rocFFT kind=compiled arch=gfx950 opt=O3
	.text
	.amdgcn_target "amdgcn-amd-amdhsa--gfx950"
	.amdhsa_code_object_version 6
	.protected	fft_rtc_back_len1512_factors_2_2_2_3_3_3_7_wgs_63_tpt_63_halfLds_sp_ip_CI_unitstride_sbrr_dirReg ; -- Begin function fft_rtc_back_len1512_factors_2_2_2_3_3_3_7_wgs_63_tpt_63_halfLds_sp_ip_CI_unitstride_sbrr_dirReg
	.globl	fft_rtc_back_len1512_factors_2_2_2_3_3_3_7_wgs_63_tpt_63_halfLds_sp_ip_CI_unitstride_sbrr_dirReg
	.p2align	8
	.type	fft_rtc_back_len1512_factors_2_2_2_3_3_3_7_wgs_63_tpt_63_halfLds_sp_ip_CI_unitstride_sbrr_dirReg,@function
fft_rtc_back_len1512_factors_2_2_2_3_3_3_7_wgs_63_tpt_63_halfLds_sp_ip_CI_unitstride_sbrr_dirReg: ; @fft_rtc_back_len1512_factors_2_2_2_3_3_3_7_wgs_63_tpt_63_halfLds_sp_ip_CI_unitstride_sbrr_dirReg
; %bb.0:
	s_load_dwordx2 s[8:9], s[0:1], 0x50
	s_load_dwordx4 s[4:7], s[0:1], 0x0
	s_load_dwordx2 s[10:11], s[0:1], 0x18
	v_mul_u32_u24_e32 v1, 0x411, v0
	v_add_u32_sdwa v6, s2, v1 dst_sel:DWORD dst_unused:UNUSED_PAD src0_sel:DWORD src1_sel:WORD_1
	v_mov_b32_e32 v4, 0
	s_waitcnt lgkmcnt(0)
	v_cmp_lt_u64_e64 s[2:3], s[6:7], 2
	v_mov_b32_e32 v7, v4
	s_and_b64 vcc, exec, s[2:3]
	v_mov_b64_e32 v[2:3], 0
	s_cbranch_vccnz .LBB0_8
; %bb.1:
	s_load_dwordx2 s[2:3], s[0:1], 0x10
	s_add_u32 s12, s10, 8
	s_addc_u32 s13, s11, 0
	s_mov_b64 s[14:15], 1
	v_mov_b64_e32 v[2:3], 0
	s_waitcnt lgkmcnt(0)
	s_add_u32 s16, s2, 8
	s_addc_u32 s17, s3, 0
.LBB0_2:                                ; =>This Inner Loop Header: Depth=1
	s_load_dwordx2 s[18:19], s[16:17], 0x0
                                        ; implicit-def: $vgpr8_vgpr9
	s_waitcnt lgkmcnt(0)
	v_or_b32_e32 v5, s19, v7
	v_cmp_ne_u64_e32 vcc, 0, v[4:5]
	s_and_saveexec_b64 s[2:3], vcc
	s_xor_b64 s[20:21], exec, s[2:3]
	s_cbranch_execz .LBB0_4
; %bb.3:                                ;   in Loop: Header=BB0_2 Depth=1
	v_cvt_f32_u32_e32 v1, s18
	v_cvt_f32_u32_e32 v5, s19
	s_sub_u32 s2, 0, s18
	s_subb_u32 s3, 0, s19
	v_fmac_f32_e32 v1, 0x4f800000, v5
	v_rcp_f32_e32 v1, v1
	s_nop 0
	v_mul_f32_e32 v1, 0x5f7ffffc, v1
	v_mul_f32_e32 v5, 0x2f800000, v1
	v_trunc_f32_e32 v5, v5
	v_fmac_f32_e32 v1, 0xcf800000, v5
	v_cvt_u32_f32_e32 v5, v5
	v_cvt_u32_f32_e32 v1, v1
	v_mul_lo_u32 v8, s2, v5
	v_mul_hi_u32 v10, s2, v1
	v_mul_lo_u32 v9, s3, v1
	v_add_u32_e32 v10, v10, v8
	v_mul_lo_u32 v12, s2, v1
	v_add_u32_e32 v13, v10, v9
	v_mul_hi_u32 v8, v1, v12
	v_mul_hi_u32 v11, v1, v13
	v_mul_lo_u32 v10, v1, v13
	v_mov_b32_e32 v9, v4
	v_lshl_add_u64 v[8:9], v[8:9], 0, v[10:11]
	v_mul_hi_u32 v11, v5, v12
	v_mul_lo_u32 v12, v5, v12
	v_add_co_u32_e32 v8, vcc, v8, v12
	v_mul_hi_u32 v10, v5, v13
	s_nop 0
	v_addc_co_u32_e32 v8, vcc, v9, v11, vcc
	v_mov_b32_e32 v9, v4
	s_nop 0
	v_addc_co_u32_e32 v11, vcc, 0, v10, vcc
	v_mul_lo_u32 v10, v5, v13
	v_lshl_add_u64 v[8:9], v[8:9], 0, v[10:11]
	v_add_co_u32_e32 v1, vcc, v1, v8
	v_mul_lo_u32 v10, s2, v1
	s_nop 0
	v_addc_co_u32_e32 v5, vcc, v5, v9, vcc
	v_mul_lo_u32 v8, s2, v5
	v_mul_hi_u32 v9, s2, v1
	v_add_u32_e32 v8, v9, v8
	v_mul_lo_u32 v9, s3, v1
	v_add_u32_e32 v12, v8, v9
	v_mul_hi_u32 v14, v5, v10
	v_mul_lo_u32 v15, v5, v10
	v_mul_hi_u32 v9, v1, v12
	v_mul_lo_u32 v8, v1, v12
	v_mul_hi_u32 v10, v1, v10
	v_mov_b32_e32 v11, v4
	v_lshl_add_u64 v[8:9], v[10:11], 0, v[8:9]
	v_add_co_u32_e32 v8, vcc, v8, v15
	v_mul_hi_u32 v13, v5, v12
	s_nop 0
	v_addc_co_u32_e32 v8, vcc, v9, v14, vcc
	v_mul_lo_u32 v10, v5, v12
	s_nop 0
	v_addc_co_u32_e32 v11, vcc, 0, v13, vcc
	v_mov_b32_e32 v9, v4
	v_lshl_add_u64 v[8:9], v[8:9], 0, v[10:11]
	v_add_co_u32_e32 v1, vcc, v1, v8
	v_mul_hi_u32 v10, v6, v1
	s_nop 0
	v_addc_co_u32_e32 v5, vcc, v5, v9, vcc
	v_mad_u64_u32 v[8:9], s[2:3], v6, v5, 0
	v_mov_b32_e32 v11, v4
	v_lshl_add_u64 v[8:9], v[10:11], 0, v[8:9]
	v_mad_u64_u32 v[12:13], s[2:3], v7, v1, 0
	v_add_co_u32_e32 v1, vcc, v8, v12
	v_mad_u64_u32 v[10:11], s[2:3], v7, v5, 0
	s_nop 0
	v_addc_co_u32_e32 v8, vcc, v9, v13, vcc
	v_mov_b32_e32 v9, v4
	s_nop 0
	v_addc_co_u32_e32 v11, vcc, 0, v11, vcc
	v_lshl_add_u64 v[8:9], v[8:9], 0, v[10:11]
	v_mul_lo_u32 v1, s19, v8
	v_mul_lo_u32 v5, s18, v9
	v_mad_u64_u32 v[10:11], s[2:3], s18, v8, 0
	v_add3_u32 v1, v11, v5, v1
	v_sub_u32_e32 v5, v7, v1
	v_mov_b32_e32 v11, s19
	v_sub_co_u32_e32 v14, vcc, v6, v10
	v_lshl_add_u64 v[12:13], v[8:9], 0, 1
	s_nop 0
	v_subb_co_u32_e64 v5, s[2:3], v5, v11, vcc
	v_subrev_co_u32_e64 v10, s[2:3], s18, v14
	v_subb_co_u32_e32 v1, vcc, v7, v1, vcc
	s_nop 0
	v_subbrev_co_u32_e64 v5, s[2:3], 0, v5, s[2:3]
	v_cmp_le_u32_e64 s[2:3], s19, v5
	v_cmp_le_u32_e32 vcc, s19, v1
	s_nop 0
	v_cndmask_b32_e64 v11, 0, -1, s[2:3]
	v_cmp_le_u32_e64 s[2:3], s18, v10
	s_nop 1
	v_cndmask_b32_e64 v10, 0, -1, s[2:3]
	v_cmp_eq_u32_e64 s[2:3], s19, v5
	s_nop 1
	v_cndmask_b32_e64 v5, v11, v10, s[2:3]
	v_lshl_add_u64 v[10:11], v[8:9], 0, 2
	v_cmp_ne_u32_e64 s[2:3], 0, v5
	s_nop 1
	v_cndmask_b32_e64 v5, v13, v11, s[2:3]
	v_cndmask_b32_e64 v11, 0, -1, vcc
	v_cmp_le_u32_e32 vcc, s18, v14
	s_nop 1
	v_cndmask_b32_e64 v13, 0, -1, vcc
	v_cmp_eq_u32_e32 vcc, s19, v1
	s_nop 1
	v_cndmask_b32_e32 v1, v11, v13, vcc
	v_cmp_ne_u32_e32 vcc, 0, v1
	v_cndmask_b32_e64 v1, v12, v10, s[2:3]
	s_nop 0
	v_cndmask_b32_e32 v9, v9, v5, vcc
	v_cndmask_b32_e32 v8, v8, v1, vcc
.LBB0_4:                                ;   in Loop: Header=BB0_2 Depth=1
	s_andn2_saveexec_b64 s[2:3], s[20:21]
	s_cbranch_execz .LBB0_6
; %bb.5:                                ;   in Loop: Header=BB0_2 Depth=1
	v_cvt_f32_u32_e32 v1, s18
	s_sub_i32 s20, 0, s18
	v_rcp_iflag_f32_e32 v1, v1
	s_nop 0
	v_mul_f32_e32 v1, 0x4f7ffffe, v1
	v_cvt_u32_f32_e32 v1, v1
	v_mul_lo_u32 v5, s20, v1
	v_mul_hi_u32 v5, v1, v5
	v_add_u32_e32 v1, v1, v5
	v_mul_hi_u32 v1, v6, v1
	v_mul_lo_u32 v5, v1, s18
	v_sub_u32_e32 v5, v6, v5
	v_add_u32_e32 v8, 1, v1
	v_subrev_u32_e32 v9, s18, v5
	v_cmp_le_u32_e32 vcc, s18, v5
	s_nop 1
	v_cndmask_b32_e32 v5, v5, v9, vcc
	v_cndmask_b32_e32 v1, v1, v8, vcc
	v_add_u32_e32 v8, 1, v1
	v_cmp_le_u32_e32 vcc, s18, v5
	v_mov_b32_e32 v9, v4
	s_nop 0
	v_cndmask_b32_e32 v8, v1, v8, vcc
.LBB0_6:                                ;   in Loop: Header=BB0_2 Depth=1
	s_or_b64 exec, exec, s[2:3]
	v_mad_u64_u32 v[10:11], s[2:3], v8, s18, 0
	s_load_dwordx2 s[2:3], s[12:13], 0x0
	v_mul_lo_u32 v1, v9, s18
	v_mul_lo_u32 v5, v8, s19
	v_add3_u32 v1, v11, v5, v1
	v_sub_co_u32_e32 v5, vcc, v6, v10
	s_add_u32 s14, s14, 1
	s_nop 0
	v_subb_co_u32_e32 v1, vcc, v7, v1, vcc
	s_addc_u32 s15, s15, 0
	s_waitcnt lgkmcnt(0)
	v_mul_lo_u32 v1, s2, v1
	v_mul_lo_u32 v6, s3, v5
	v_mad_u64_u32 v[2:3], s[2:3], s2, v5, v[2:3]
	s_add_u32 s12, s12, 8
	v_add3_u32 v3, v6, v3, v1
	s_addc_u32 s13, s13, 0
	v_mov_b64_e32 v[6:7], s[6:7]
	s_add_u32 s16, s16, 8
	v_cmp_ge_u64_e32 vcc, s[14:15], v[6:7]
	s_addc_u32 s17, s17, 0
	s_cbranch_vccnz .LBB0_9
; %bb.7:                                ;   in Loop: Header=BB0_2 Depth=1
	v_mov_b64_e32 v[6:7], v[8:9]
	s_branch .LBB0_2
.LBB0_8:
	v_mov_b64_e32 v[8:9], v[6:7]
.LBB0_9:
	s_lshl_b64 s[2:3], s[6:7], 3
	s_add_u32 s2, s10, s2
	s_addc_u32 s3, s11, s3
	s_load_dwordx2 s[6:7], s[2:3], 0x0
	s_load_dwordx2 s[10:11], s[0:1], 0x20
	s_mov_b32 s2, 0x4104105
	v_mov_b64_e32 v[6:7], 0
	v_mov_b64_e32 v[10:11], v[6:7]
	s_waitcnt lgkmcnt(0)
	v_mul_lo_u32 v1, s6, v9
	v_mul_lo_u32 v4, s7, v8
	v_mad_u64_u32 v[2:3], s[0:1], s6, v8, v[2:3]
	v_add3_u32 v3, v4, v3, v1
	v_mul_hi_u32 v1, v0, s2
	v_mul_u32_u24_e32 v1, 63, v1
	v_cmp_gt_u64_e64 s[0:1], s[10:11], v[8:9]
	v_sub_u32_e32 v24, v0, v1
	v_lshl_add_u64 v[26:27], v[2:3], 3, s[8:9]
	v_mov_b64_e32 v[4:5], v[6:7]
	v_mov_b64_e32 v[2:3], v[6:7]
	;; [unrolled: 1-line block ×10, first 2 shown]
                                        ; implicit-def: $vgpr22
                                        ; implicit-def: $vgpr18
                                        ; implicit-def: $vgpr32
                                        ; implicit-def: $vgpr34
                                        ; implicit-def: $vgpr36
                                        ; implicit-def: $vgpr38
                                        ; implicit-def: $vgpr42
                                        ; implicit-def: $vgpr46
                                        ; implicit-def: $vgpr48
                                        ; implicit-def: $vgpr44
                                        ; implicit-def: $vgpr40
                                        ; implicit-def: $vgpr50
	s_and_saveexec_b64 s[2:3], s[0:1]
	s_cbranch_execz .LBB0_11
; %bb.10:
	v_mov_b32_e32 v25, 0
	v_lshl_add_u64 v[42:43], v[24:25], 3, v[26:27]
	v_add_co_u32_e32 v52, vcc, 0x1000, v42
	s_nop 1
	v_addc_co_u32_e32 v53, vcc, 0, v43, vcc
	v_add_co_u32_e32 v54, vcc, 0x2000, v42
	global_load_dwordx2 v[6:7], v[42:43], off
	global_load_dwordx2 v[4:5], v[42:43], off offset:504
	global_load_dwordx2 v[2:3], v[42:43], off offset:1008
	;; [unrolled: 1-line block ×7, first 2 shown]
	v_addc_co_u32_e32 v55, vcc, 0, v43, vcc
	global_load_dwordx2 v[8:9], v[42:43], off offset:2016
	global_load_dwordx2 v[10:11], v[42:43], off offset:2520
	;; [unrolled: 1-line block ×15, first 2 shown]
                                        ; kill: killed $vgpr52 killed $vgpr53
                                        ; kill: killed $vgpr42 killed $vgpr43
	global_load_dwordx2 v[42:43], v[54:55], off offset:3400
.LBB0_11:
	s_or_b64 exec, exec, s[2:3]
	s_waitcnt vmcnt(19)
	v_sub_f32_e32 v71, v7, v23
	v_sub_f32_e32 v53, v6, v22
	v_fma_f32 v70, v7, 2.0, -v71
	s_waitcnt vmcnt(18)
	v_sub_f32_e32 v7, v4, v50
	s_waitcnt vmcnt(17)
	v_sub_f32_e32 v23, v2, v40
	;; [unrolled: 2-line block ×8, first 2 shown]
	v_add_u32_e32 v68, 63, v24
	v_add_u32_e32 v25, 0x7e, v24
	;; [unrolled: 1-line block ×5, first 2 shown]
	v_fma_f32 v52, v6, 2.0, -v53
	v_fma_f32 v6, v4, 2.0, -v7
	;; [unrolled: 1-line block ×6, first 2 shown]
	v_sub_f32_e32 v73, v12, v44
	v_sub_f32_e32 v75, v14, v36
	;; [unrolled: 1-line block ×3, first 2 shown]
	v_fma_f32 v78, v20, 2.0, -v79
	v_fma_f32 v80, v28, 2.0, -v81
	;; [unrolled: 1-line block ×3, first 2 shown]
	v_lshl_add_u32 v0, v24, 3, 0
	v_lshl_add_u32 v2, v68, 3, 0
	;; [unrolled: 1-line block ×4, first 2 shown]
	v_add_u32_e32 v64, 0x13b, v24
	v_lshl_add_u32 v30, v67, 3, 0
	v_add_u32_e32 v61, 0x1b9, v24
	v_lshl_add_u32 v34, v62, 3, 0
	v_add_u32_e32 v38, 0x1f8, v24
	v_add_u32_e32 v28, 0x237, v24
	;; [unrolled: 1-line block ×4, first 2 shown]
	v_lshlrev_b32_e32 v4, 2, v62
	v_fma_f32 v72, v12, 2.0, -v73
	v_fma_f32 v74, v14, 2.0, -v75
	;; [unrolled: 1-line block ×3, first 2 shown]
	ds_write_b64 v0, v[52:53]
	ds_write_b64 v2, v[6:7]
	;; [unrolled: 1-line block ×5, first 2 shown]
	v_lshl_add_u32 v32, v64, 3, 0
	v_lshl_add_u32 v36, v61, 3, 0
	;; [unrolled: 1-line block ×7, first 2 shown]
	v_sub_u32_e32 v42, v34, v4
	v_lshlrev_b32_e32 v4, 2, v61
	v_lshl_add_u32 v57, v67, 2, 0
	ds_write_b64 v32, v[58:59]
	ds_write_b64 v34, v[72:73]
	;; [unrolled: 1-line block ×7, first 2 shown]
	s_waitcnt lgkmcnt(0)
	; wave barrier
	s_waitcnt lgkmcnt(0)
	v_add_u32_e32 v48, 0xa00, v66
	v_add_u32_e32 v44, 0xc00, v66
	v_sub_u32_e32 v56, v36, v4
	v_add_u32_e32 v46, 0xe00, v66
	v_lshl_add_u32 v59, v64, 2, 0
	v_add_u32_e32 v60, 0x1000, v66
	ds_read_b32 v86, v57
	ds_read_b32 v87, v59
	;; [unrolled: 1-line block ×4, first 2 shown]
	v_add_u32_e32 v65, 0x600, v66
	v_add_u32_e32 v63, 0x1200, v66
	;; [unrolled: 1-line block ×4, first 2 shown]
	ds_read2_b32 v[54:55], v66 offset1:63
	ds_read2_b32 v[72:73], v48 offset0:116 offset1:179
	ds_read2_b32 v[52:53], v66 offset0:126 offset1:189
	ds_read2_b32 v[74:75], v44 offset0:114 offset1:177
	ds_read2_b32 v[76:77], v46 offset0:112 offset1:175
	ds_read2_b32 v[78:79], v60 offset0:110 offset1:173
	ds_read2_b32 v[22:23], v65 offset0:120 offset1:183
	ds_read2_b32 v[80:81], v63 offset0:108 offset1:171
	ds_read2_b32 v[6:7], v58 offset0:118 offset1:181
	ds_read2_b32 v[82:83], v50 offset0:106 offset1:169
	s_waitcnt lgkmcnt(0)
	; wave barrier
	s_waitcnt lgkmcnt(0)
	ds_write_b64 v0, v[70:71]
	v_sub_f32_e32 v71, v5, v51
	v_fma_f32 v70, v5, 2.0, -v71
	v_sub_f32_e32 v5, v3, v41
	v_fma_f32 v4, v3, 2.0, -v5
	v_sub_f32_e32 v3, v1, v19
	ds_write_b64 v2, v[70:71]
	v_fma_f32 v2, v1, 2.0, -v3
	ds_write_b64 v10, v[2:3]
	v_sub_f32_e32 v1, v9, v33
	v_sub_f32_e32 v3, v11, v35
	ds_write_b64 v8, v[4:5]
	v_fma_f32 v0, v9, 2.0, -v1
	v_fma_f32 v2, v11, 2.0, -v3
	v_sub_f32_e32 v5, v13, v45
	v_sub_f32_e32 v9, v15, v37
	;; [unrolled: 1-line block ×3, first 2 shown]
	v_fma_f32 v4, v13, 2.0, -v5
	v_fma_f32 v8, v15, 2.0, -v9
	;; [unrolled: 1-line block ×3, first 2 shown]
	v_sub_f32_e32 v13, v21, v47
	v_sub_f32_e32 v15, v29, v39
	;; [unrolled: 1-line block ×3, first 2 shown]
	v_and_b32_e32 v19, 1, v68
	v_fma_f32 v12, v21, 2.0, -v13
	v_fma_f32 v14, v29, 2.0, -v15
	;; [unrolled: 1-line block ×3, first 2 shown]
	ds_write_b64 v30, v[0:1]
	ds_write_b64 v32, v[2:3]
	ds_write_b64 v34, v[4:5]
	ds_write_b64 v36, v[8:9]
	ds_write_b64 v40, v[10:11]
	ds_write_b64 v69, v[12:13]
	ds_write_b64 v84, v[14:15]
	ds_write_b64 v85, v[16:17]
	v_lshlrev_b32_e32 v0, 3, v19
	s_waitcnt lgkmcnt(0)
	; wave barrier
	s_waitcnt lgkmcnt(0)
	global_load_dwordx2 v[0:1], v0, s[4:5]
	v_and_b32_e32 v29, 1, v98
	v_and_b32_e32 v21, 1, v24
	v_lshlrev_b32_e32 v11, 3, v29
	v_and_b32_e32 v39, 1, v64
	v_lshlrev_b32_e32 v10, 3, v21
	v_lshlrev_b32_e32 v12, 3, v39
	global_load_dwordx2 v[2:3], v11, s[4:5]
	global_load_dwordx2 v[4:5], v12, s[4:5]
	;; [unrolled: 1-line block ×3, first 2 shown]
	v_and_b32_e32 v40, 1, v61
	v_lshlrev_b32_e32 v10, 3, v40
	global_load_dwordx2 v[10:11], v10, s[4:5]
	v_and_b32_e32 v41, 1, v28
	v_lshlrev_b32_e32 v12, 3, v41
	global_load_dwordx2 v[12:13], v12, s[4:5]
	;; [unrolled: 3-line block ×3, first 2 shown]
	ds_read2_b32 v[16:17], v48 offset0:116 offset1:179
	s_movk_i32 s2, 0x7c
	ds_read2_b32 v[32:33], v66 offset0:126 offset1:189
	v_lshlrev_b32_e32 v85, 1, v67
	s_movk_i32 s3, 0x2fc
	v_lshlrev_b32_e32 v90, 1, v28
	v_lshlrev_b32_e32 v91, 1, v20
	v_lshlrev_b32_e32 v92, 1, v18
	v_cmp_gt_u32_e32 vcc, 9, v24
	s_waitcnt vmcnt(6) lgkmcnt(1)
	v_mul_f32_e32 v45, v17, v1
	v_mul_f32_e32 v1, v73, v1
	v_fmac_f32_e32 v45, v73, v0
	v_fma_f32 v17, v17, v0, -v1
	ds_read2_b32 v[0:1], v44 offset0:114 offset1:177
	s_waitcnt vmcnt(3)
	v_mul_f32_e32 v34, v16, v9
	v_fmac_f32_e32 v34, v72, v8
	s_waitcnt lgkmcnt(0)
	v_mul_f32_e32 v49, v1, v3
	v_mul_f32_e32 v3, v75, v3
	v_fmac_f32_e32 v49, v75, v2
	v_fma_f32 v51, v1, v2, -v3
	ds_read2_b32 v[2:3], v46 offset0:112 offset1:175
	v_mul_f32_e32 v1, v74, v9
	v_mul_f32_e32 v69, v0, v9
	v_fma_f32 v70, v0, v8, -v1
	v_mul_f32_e32 v0, v77, v5
	v_mul_f32_e32 v30, v72, v9
	s_waitcnt lgkmcnt(0)
	v_fma_f32 v72, v3, v4, -v0
	ds_read2_b32 v[0:1], v60 offset0:110 offset1:173
	v_mul_f32_e32 v71, v3, v5
	v_mul_f32_e32 v3, v76, v9
	v_fmac_f32_e32 v71, v77, v4
	v_mul_f32_e32 v4, v2, v9
	v_fma_f32 v73, v2, v8, -v3
	s_waitcnt vmcnt(2)
	v_mul_f32_e32 v2, v79, v11
	v_fmac_f32_e32 v69, v74, v8
	s_waitcnt lgkmcnt(0)
	v_fma_f32 v74, v1, v10, -v2
	ds_read2_b32 v[2:3], v63 offset0:108 offset1:171
	v_mul_f32_e32 v5, v1, v11
	v_mul_f32_e32 v1, v78, v9
	v_fmac_f32_e32 v5, v79, v10
	v_mul_f32_e32 v10, v0, v9
	v_fma_f32 v75, v0, v8, -v1
	s_waitcnt vmcnt(1)
	v_mul_f32_e32 v0, v81, v13
	v_fmac_f32_e32 v4, v76, v8
	s_waitcnt lgkmcnt(0)
	v_fma_f32 v76, v3, v12, -v0
	ds_read2_b32 v[0:1], v50 offset0:106 offset1:169
	v_mul_f32_e32 v11, v3, v13
	v_fmac_f32_e32 v11, v81, v12
	v_mul_f32_e32 v12, v80, v9
	v_mul_f32_e32 v3, v2, v9
	v_fma_f32 v77, v2, v8, -v12
	s_waitcnt lgkmcnt(0)
	v_mul_f32_e32 v2, v0, v9
	v_mul_f32_e32 v9, v82, v9
	v_fma_f32 v47, v16, v8, -v30
	v_fmac_f32_e32 v10, v78, v8
	v_fmac_f32_e32 v3, v80, v8
	;; [unrolled: 1-line block ×3, first 2 shown]
	v_fma_f32 v78, v0, v8, -v9
	s_waitcnt vmcnt(0)
	v_mul_f32_e32 v8, v83, v15
	v_lshlrev_b32_e32 v16, 1, v24
	v_mul_f32_e32 v0, v1, v15
	v_fma_f32 v79, v1, v14, -v8
	v_sub_f32_e32 v1, v54, v34
	v_and_or_b32 v8, v16, s2, v21
	v_lshl_add_u32 v84, v8, 2, 0
	v_fma_f32 v8, v54, 2.0, -v1
	ds_read2_b32 v[30:31], v66 offset1:63
	v_fmac_f32_e32 v0, v83, v14
	ds_read_b32 v80, v57
	ds_read_b32 v81, v59
	;; [unrolled: 1-line block ×4, first 2 shown]
	ds_read2_b32 v[34:35], v65 offset0:120 offset1:183
	ds_read2_b32 v[36:37], v58 offset0:118 offset1:181
	s_waitcnt lgkmcnt(0)
	; wave barrier
	s_waitcnt lgkmcnt(0)
	ds_write2_b32 v84, v8, v1 offset1:2
	v_sub_f32_e32 v1, v55, v45
	s_movk_i32 s2, 0xfc
	v_lshlrev_b32_e32 v45, 1, v68
	v_and_or_b32 v9, v45, s2, v19
	v_fma_f32 v8, v55, 2.0, -v1
	v_lshl_add_u32 v19, v9, 2, 0
	ds_write2_b32 v19, v8, v1 offset1:2
	v_sub_f32_e32 v1, v52, v69
	s_movk_i32 s2, 0x1fc
	v_lshlrev_b32_e32 v69, 1, v25
	v_and_or_b32 v8, v69, s2, v21
	v_lshl_add_u32 v54, v8, 2, 0
	v_fma_f32 v8, v52, 2.0, -v1
	ds_write2_b32 v54, v8, v1 offset1:2
	v_sub_f32_e32 v1, v53, v49
	v_lshlrev_b32_e32 v49, 1, v98
	v_and_or_b32 v9, v49, s2, v29
	v_fma_f32 v8, v53, 2.0, -v1
	v_lshl_add_u32 v29, v9, 2, 0
	s_movk_i32 s2, 0x3fc
	ds_write2_b32 v29, v8, v1 offset1:2
	v_sub_f32_e32 v1, v86, v4
	v_and_or_b32 v8, v85, s2, v21
	v_fma_f32 v4, v86, 2.0, -v1
	v_lshl_add_u32 v52, v8, 2, 0
	v_lshlrev_b32_e32 v86, 1, v64
	ds_write2_b32 v52, v4, v1 offset1:2
	v_sub_f32_e32 v1, v87, v71
	v_and_or_b32 v8, v86, s3, v39
	v_fma_f32 v4, v87, 2.0, -v1
	v_lshl_add_u32 v53, v8, 2, 0
	v_lshlrev_b32_e32 v87, 1, v62
	;; [unrolled: 6-line block ×4, first 2 shown]
	s_movk_i32 s2, 0x7fc
	ds_write2_b32 v40, v4, v1 offset1:2
	v_sub_f32_e32 v1, v22, v3
	v_and_or_b32 v3, v89, s2, v21
	v_lshl_add_u32 v71, v3, 2, 0
	v_fma_f32 v3, v22, 2.0, -v1
	s_movk_i32 s2, 0x4fc
	ds_write2_b32 v71, v3, v1 offset1:2
	v_sub_f32_e32 v1, v23, v11
	v_and_or_b32 v4, v90, s2, v41
	v_fma_f32 v3, v23, 2.0, -v1
	v_lshl_add_u32 v41, v4, 2, 0
	s_movk_i32 s2, 0x5fc
	ds_write2_b32 v41, v3, v1 offset1:2
	v_sub_f32_e32 v1, v6, v2
	v_and_or_b32 v2, v91, s2, v21
	v_lshl_add_u32 v21, v2, 2, 0
	v_fma_f32 v2, v6, 2.0, -v1
	ds_write2_b32 v21, v2, v1 offset1:2
	v_sub_f32_e32 v0, v7, v0
	v_sub_f32_e32 v47, v30, v47
	v_and_or_b32 v2, v92, s2, v43
	v_fma_f32 v1, v7, 2.0, -v0
	v_lshl_add_u32 v43, v2, 2, 0
	v_fma_f32 v30, v30, 2.0, -v47
	v_sub_f32_e32 v17, v31, v17
	ds_write2_b32 v43, v1, v0 offset1:2
	s_waitcnt lgkmcnt(0)
	; wave barrier
	s_waitcnt lgkmcnt(0)
	ds_read_b32 v93, v57
	ds_read_b32 v94, v59
	;; [unrolled: 1-line block ×4, first 2 shown]
	ds_read2_b32 v[6:7], v66 offset1:63
	ds_read2_b32 v[14:15], v48 offset0:116 offset1:179
	ds_read2_b32 v[4:5], v66 offset0:126 offset1:189
	;; [unrolled: 1-line block ×9, first 2 shown]
	s_waitcnt lgkmcnt(0)
	; wave barrier
	s_waitcnt lgkmcnt(0)
	ds_write2_b32 v84, v30, v47 offset1:2
	v_fma_f32 v30, v31, 2.0, -v17
	ds_write2_b32 v19, v30, v17 offset1:2
	v_sub_f32_e32 v17, v32, v70
	v_fma_f32 v19, v32, 2.0, -v17
	ds_write2_b32 v54, v19, v17 offset1:2
	v_sub_f32_e32 v17, v33, v51
	;; [unrolled: 3-line block ×7, first 2 shown]
	v_fma_f32 v19, v34, 2.0, -v17
	v_sub_f32_e32 v29, v35, v76
	v_sub_f32_e32 v31, v36, v78
	;; [unrolled: 1-line block ×3, first 2 shown]
	v_fma_f32 v30, v35, 2.0, -v29
	v_fma_f32 v32, v36, 2.0, -v31
	;; [unrolled: 1-line block ×3, first 2 shown]
	ds_write2_b32 v71, v19, v17 offset1:2
	ds_write2_b32 v41, v30, v29 offset1:2
	;; [unrolled: 1-line block ×4, first 2 shown]
	v_and_b32_e32 v17, 3, v25
	v_lshlrev_b32_e32 v19, 3, v17
	s_waitcnt lgkmcnt(0)
	; wave barrier
	s_waitcnt lgkmcnt(0)
	global_load_dwordx2 v[30:31], v19, s[4:5] offset:16
	v_and_b32_e32 v43, 3, v98
	v_lshlrev_b32_e32 v19, 3, v43
	v_and_b32_e32 v47, 3, v62
	global_load_dwordx2 v[32:33], v19, s[4:5] offset:16
	v_lshlrev_b32_e32 v19, 3, v47
	global_load_dwordx2 v[34:35], v19, s[4:5] offset:16
	v_and_b32_e32 v51, 3, v61
	v_lshlrev_b32_e32 v19, 3, v51
	v_and_b32_e32 v72, 3, v68
	global_load_dwordx2 v[36:37], v19, s[4:5] offset:16
	v_lshlrev_b32_e32 v19, 3, v72
	global_load_dwordx2 v[40:41], v19, s[4:5] offset:16
	v_and_b32_e32 v73, 3, v24
	v_lshlrev_b32_e32 v19, 3, v73
	global_load_dwordx2 v[52:53], v19, s[4:5] offset:16
	v_and_b32_e32 v75, 3, v28
	v_and_b32_e32 v74, 3, v64
	v_lshlrev_b32_e32 v21, 3, v75
	v_lshlrev_b32_e32 v19, 3, v74
	global_load_dwordx2 v[28:29], v21, s[4:5] offset:16
	global_load_dwordx2 v[54:55], v19, s[4:5] offset:16
	v_and_b32_e32 v76, 3, v20
	v_lshlrev_b32_e32 v19, 3, v76
	global_load_dwordx2 v[20:21], v19, s[4:5] offset:16
	v_and_b32_e32 v77, 3, v18
	v_lshlrev_b32_e32 v18, 3, v77
	global_load_dwordx2 v[18:19], v18, s[4:5] offset:16
	ds_read2_b32 v[70:71], v44 offset0:114 offset1:177
	s_movk_i32 s2, 0x78
	s_movk_i32 s3, 0x2f8
	s_waitcnt vmcnt(9) lgkmcnt(0)
	v_mul_f32_e32 v78, v70, v31
	v_fmac_f32_e32 v78, v22, v30
	v_mul_f32_e32 v22, v22, v31
	v_fma_f32 v70, v70, v30, -v22
	ds_read2_b32 v[30:31], v60 offset0:110 offset1:173
	s_waitcnt vmcnt(8)
	v_mul_f32_e32 v22, v23, v33
	v_mul_f32_e32 v79, v71, v33
	v_fma_f32 v71, v71, v32, -v22
	s_waitcnt vmcnt(7)
	v_mul_f32_e32 v22, v38, v35
	s_waitcnt lgkmcnt(0)
	v_mul_f32_e32 v80, v30, v35
	v_fmac_f32_e32 v79, v23, v32
	v_fmac_f32_e32 v80, v38, v34
	v_fma_f32 v38, v30, v34, -v22
	ds_read2_b32 v[22:23], v48 offset0:116 offset1:179
	s_waitcnt vmcnt(6)
	v_mul_f32_e32 v81, v31, v37
	v_mul_f32_e32 v30, v39, v37
	v_fmac_f32_e32 v81, v39, v36
	v_fma_f32 v39, v31, v36, -v30
	s_waitcnt vmcnt(5) lgkmcnt(0)
	v_mul_f32_e32 v82, v23, v41
	ds_read2_b32 v[30:31], v46 offset0:112 offset1:175
	v_fmac_f32_e32 v82, v15, v40
	v_mul_f32_e32 v15, v15, v41
	v_fma_f32 v40, v23, v40, -v15
	s_waitcnt vmcnt(4)
	v_mul_f32_e32 v23, v22, v53
	v_fmac_f32_e32 v23, v14, v52
	v_mul_f32_e32 v14, v14, v53
	v_fma_f32 v22, v22, v52, -v14
	ds_read2_b32 v[14:15], v63 offset0:108 offset1:171
	s_waitcnt vmcnt(2) lgkmcnt(1)
	v_mul_f32_e32 v41, v31, v55
	v_fmac_f32_e32 v41, v13, v54
	v_mul_f32_e32 v13, v13, v55
	v_mul_f32_e32 v55, v30, v53
	v_fmac_f32_e32 v55, v12, v52
	v_mul_f32_e32 v12, v12, v53
	v_fma_f32 v54, v31, v54, -v13
	v_fma_f32 v83, v30, v52, -v12
	ds_read2_b32 v[12:13], v50 offset0:106 offset1:169
	s_waitcnt lgkmcnt(1)
	v_mul_f32_e32 v84, v14, v53
	v_fmac_f32_e32 v84, v10, v52
	v_mul_f32_e32 v10, v10, v53
	v_fma_f32 v52, v14, v52, -v10
	v_mul_f32_e32 v10, v15, v29
	v_fmac_f32_e32 v10, v11, v28
	v_mul_f32_e32 v11, v11, v29
	v_fma_f32 v29, v15, v28, -v11
	s_waitcnt vmcnt(1) lgkmcnt(0)
	v_mul_f32_e32 v11, v12, v21
	v_fmac_f32_e32 v11, v8, v20
	v_mul_f32_e32 v8, v8, v21
	v_fma_f32 v53, v12, v20, -v8
	s_waitcnt vmcnt(0)
	v_mul_f32_e32 v8, v13, v19
	v_fmac_f32_e32 v8, v9, v18
	v_mul_f32_e32 v9, v9, v19
	v_fma_f32 v97, v13, v18, -v9
	v_sub_f32_e32 v9, v6, v23
	v_and_or_b32 v12, v16, s2, v73
	v_lshl_add_u32 v103, v12, 2, 0
	v_fma_f32 v6, v6, 2.0, -v9
	s_movk_i32 s2, 0xf8
	ds_read_b32 v99, v57
	ds_read_b32 v100, v59
	;; [unrolled: 1-line block ×4, first 2 shown]
	ds_read2_b32 v[30:31], v66 offset1:63
	ds_read2_b32 v[32:33], v66 offset0:126 offset1:189
	ds_read2_b32 v[34:35], v65 offset0:120 offset1:183
	;; [unrolled: 1-line block ×3, first 2 shown]
	s_waitcnt lgkmcnt(0)
	; wave barrier
	s_waitcnt lgkmcnt(0)
	ds_write2_b32 v103, v6, v9 offset1:4
	v_sub_f32_e32 v6, v7, v82
	v_and_or_b32 v9, v45, s2, v72
	v_fma_f32 v7, v7, 2.0, -v6
	v_lshl_add_u32 v45, v9, 2, 0
	s_movk_i32 s2, 0x1f8
	ds_write2_b32 v45, v7, v6 offset1:4
	v_and_or_b32 v6, v69, s2, v17
	v_sub_f32_e32 v7, v4, v78
	v_lshl_add_u32 v69, v6, 2, 0
	v_fma_f32 v4, v4, 2.0, -v7
	ds_write2_b32 v69, v4, v7 offset1:4
	v_sub_f32_e32 v4, v5, v79
	v_and_or_b32 v6, v49, s2, v43
	v_fma_f32 v5, v5, 2.0, -v4
	v_lshl_add_u32 v43, v6, 2, 0
	s_movk_i32 s2, 0x3f8
	ds_write2_b32 v43, v5, v4 offset1:4
	v_sub_f32_e32 v4, v93, v55
	v_and_or_b32 v6, v85, s2, v73
	v_fma_f32 v5, v93, 2.0, -v4
	v_lshl_add_u32 v49, v6, 2, 0
	ds_write2_b32 v49, v5, v4 offset1:4
	v_and_or_b32 v4, v86, s3, v74
	v_sub_f32_e32 v5, v94, v41
	v_fma_f32 v6, v94, 2.0, -v5
	v_lshl_add_u32 v41, v4, 2, 0
	ds_write2_b32 v41, v6, v5 offset1:4
	v_and_or_b32 v4, v87, s2, v47
	v_sub_f32_e32 v5, v95, v80
	v_fma_f32 v6, v95, 2.0, -v5
	v_lshl_add_u32 v47, v4, 2, 0
	v_sub_f32_e32 v4, v96, v81
	v_sub_f32_e32 v7, v3, v10
	v_and_or_b32 v10, v88, s2, v51
	ds_write2_b32 v47, v6, v5 offset1:4
	v_fma_f32 v5, v96, 2.0, -v4
	v_lshl_add_u32 v51, v10, 2, 0
	s_movk_i32 s2, 0x7f8
	v_sub_f32_e32 v6, v2, v84
	ds_write2_b32 v51, v5, v4 offset1:4
	v_and_or_b32 v4, v89, s2, v73
	v_fma_f32 v2, v2, 2.0, -v6
	v_lshl_add_u32 v72, v4, 2, 0
	s_movk_i32 s2, 0x4f8
	ds_write2_b32 v72, v2, v6 offset1:4
	v_and_or_b32 v2, v90, s2, v75
	s_movk_i32 s2, 0x5f8
	v_sub_f32_e32 v9, v0, v11
	v_lshl_add_u32 v73, v2, 2, 0
	v_and_or_b32 v2, v91, s2, v76
	v_fma_f32 v3, v3, 2.0, -v7
	v_fma_f32 v0, v0, 2.0, -v9
	v_lshl_add_u32 v74, v2, 2, 0
	v_sub_f32_e32 v55, v30, v22
	v_sub_f32_e32 v8, v1, v8
	ds_write2_b32 v73, v3, v7 offset1:4
	ds_write2_b32 v74, v0, v9 offset1:4
	v_and_or_b32 v0, v92, s2, v77
	v_fma_f32 v1, v1, 2.0, -v8
	v_lshl_add_u32 v75, v0, 2, 0
	v_fma_f32 v30, v30, 2.0, -v55
	ds_write2_b32 v75, v1, v8 offset1:4
	s_waitcnt lgkmcnt(0)
	; wave barrier
	s_waitcnt lgkmcnt(0)
	ds_read2_b32 v[2:3], v66 offset1:63
	ds_read2_b32 v[20:21], v65 offset0:120 offset1:183
	ds_read2_b32 v[18:19], v46 offset0:112 offset1:175
	;; [unrolled: 1-line block ×5, first 2 shown]
	ds_read_b32 v28, v57
	ds_read_b32 v23, v59
	;; [unrolled: 1-line block ×4, first 2 shown]
	ds_read2_b32 v[10:11], v48 offset0:116 offset1:179
	ds_read2_b32 v[8:9], v63 offset0:108 offset1:171
	;; [unrolled: 1-line block ×4, first 2 shown]
	s_waitcnt lgkmcnt(0)
	; wave barrier
	s_waitcnt lgkmcnt(0)
	ds_write2_b32 v103, v30, v55 offset1:4
	v_sub_f32_e32 v30, v31, v40
	v_fma_f32 v31, v31, 2.0, -v30
	ds_write2_b32 v45, v31, v30 offset1:4
	v_sub_f32_e32 v30, v32, v70
	v_fma_f32 v31, v32, 2.0, -v30
	;; [unrolled: 3-line block ×3, first 2 shown]
	v_sub_f32_e32 v32, v99, v83
	v_sub_f32_e32 v40, v100, v54
	;; [unrolled: 1-line block ×8, first 2 shown]
	v_fma_f32 v33, v99, 2.0, -v32
	v_fma_f32 v45, v100, 2.0, -v40
	;; [unrolled: 1-line block ×8, first 2 shown]
	ds_write2_b32 v43, v31, v30 offset1:4
	ds_write2_b32 v49, v33, v32 offset1:4
	;; [unrolled: 1-line block ×9, first 2 shown]
	v_and_b32_e32 v29, 7, v24
	v_lshlrev_b32_e32 v30, 4, v29
	s_waitcnt lgkmcnt(0)
	; wave barrier
	s_waitcnt lgkmcnt(0)
	global_load_dwordx4 v[30:33], v30, s[4:5] offset:48
	v_and_b32_e32 v43, 7, v68
	v_lshlrev_b32_e32 v34, 4, v43
	global_load_dwordx4 v[34:37], v34, s[4:5] offset:48
	v_and_b32_e32 v45, 7, v25
	v_lshlrev_b32_e32 v38, 4, v45
	v_and_b32_e32 v47, 7, v98
	global_load_dwordx4 v[38:41], v38, s[4:5] offset:48
	v_lshlrev_b32_e32 v49, 4, v47
	global_load_dwordx4 v[52:55], v49, s[4:5] offset:48
	v_and_b32_e32 v49, 7, v67
	v_lshlrev_b32_e32 v51, 4, v49
	global_load_dwordx4 v[70:73], v51, s[4:5] offset:48
	v_and_b32_e32 v90, 7, v61
	;; [unrolled: 3-line block ×4, first 2 shown]
	v_lshlrev_b32_e32 v78, 4, v69
	global_load_dwordx4 v[78:81], v78, s[4:5] offset:48
	ds_read2_b32 v[86:87], v65 offset0:120 offset1:183
	ds_read2_b32 v[88:89], v46 offset0:112 offset1:175
	s_movk_i32 s2, 0xab
	s_movk_i32 s3, 0x120
	s_waitcnt vmcnt(7) lgkmcnt(0)
	v_mul_f32_e32 v92, v88, v33
	v_mul_f32_e32 v91, v86, v31
	v_fmac_f32_e32 v92, v18, v32
	v_mul_f32_e32 v18, v18, v33
	v_fmac_f32_e32 v91, v20, v30
	v_mul_f32_e32 v20, v20, v31
	v_fma_f32 v18, v88, v32, -v18
	s_waitcnt vmcnt(6)
	v_mul_f32_e32 v88, v87, v35
	v_fma_f32 v86, v86, v30, -v20
	ds_read2_b32 v[30:31], v58 offset0:118 offset1:181
	v_fmac_f32_e32 v88, v21, v34
	v_mul_f32_e32 v32, v21, v35
	ds_read2_b32 v[20:21], v60 offset0:110 offset1:173
	v_mul_f32_e32 v93, v89, v37
	s_waitcnt vmcnt(5) lgkmcnt(1)
	v_mul_f32_e32 v94, v30, v39
	v_fmac_f32_e32 v94, v14, v38
	v_mul_f32_e32 v14, v14, v39
	s_waitcnt lgkmcnt(0)
	v_mul_f32_e32 v96, v20, v41
	v_fmac_f32_e32 v96, v12, v40
	v_mul_f32_e32 v12, v12, v41
	s_waitcnt vmcnt(4)
	v_mul_f32_e32 v99, v31, v53
	v_fma_f32 v95, v30, v38, -v14
	v_fma_f32 v97, v20, v40, -v12
	v_fmac_f32_e32 v99, v15, v52
	v_mul_f32_e32 v12, v15, v53
	ds_read2_b32 v[14:15], v48 offset0:116 offset1:179
	v_fma_f32 v53, v31, v52, -v12
	v_mul_f32_e32 v100, v21, v55
	v_mul_f32_e32 v12, v13, v55
	v_fmac_f32_e32 v100, v13, v54
	v_fma_f32 v54, v21, v54, -v12
	ds_read2_b32 v[12:13], v63 offset0:108 offset1:171
	s_waitcnt vmcnt(3) lgkmcnt(1)
	v_mul_f32_e32 v55, v14, v71
	v_fmac_f32_e32 v55, v10, v70
	v_mul_f32_e32 v10, v10, v71
	v_fma_f32 v14, v14, v70, -v10
	s_waitcnt lgkmcnt(0)
	v_mul_f32_e32 v70, v12, v73
	v_fmac_f32_e32 v70, v8, v72
	v_mul_f32_e32 v8, v8, v73
	v_fma_f32 v12, v12, v72, -v8
	s_waitcnt vmcnt(1)
	v_mul_f32_e32 v8, v11, v75
	v_mul_f32_e32 v71, v15, v75
	v_fma_f32 v15, v15, v74, -v8
	v_mul_f32_e32 v72, v13, v77
	v_mul_f32_e32 v8, v9, v77
	v_fmac_f32_e32 v72, v9, v76
	v_fma_f32 v13, v13, v76, -v8
	ds_read2_b32 v[8:9], v50 offset0:106 offset1:169
	v_fmac_f32_e32 v71, v11, v74
	ds_read2_b32 v[10:11], v44 offset0:114 offset1:177
	v_fmac_f32_e32 v93, v19, v36
	v_mul_f32_e32 v19, v19, v37
	s_waitcnt vmcnt(0) lgkmcnt(1)
	v_mul_f32_e32 v74, v8, v81
	v_fmac_f32_e32 v74, v4, v80
	v_mul_f32_e32 v4, v4, v81
	v_fma_f32 v8, v8, v80, -v4
	v_mul_f32_e32 v4, v7, v83
	s_waitcnt lgkmcnt(0)
	v_mul_f32_e32 v75, v11, v83
	v_fma_f32 v11, v11, v82, -v4
	v_mul_f32_e32 v4, v5, v85
	v_mul_f32_e32 v76, v9, v85
	v_fma_f32 v9, v9, v84, -v4
	v_add_f32_e32 v4, v2, v91
	v_fma_f32 v89, v89, v36, -v19
	v_add_f32_e32 v19, v4, v92
	v_add_f32_e32 v4, v91, v92
	v_fma_f32 v2, -0.5, v4, v2
	v_lshrrev_b32_e32 v4, 3, v24
	v_mul_u32_u24_e32 v4, 24, v4
	v_or_b32_e32 v20, v4, v29
	v_mul_f32_e32 v73, v10, v79
	v_lshl_add_u32 v81, v20, 2, 0
	v_sub_f32_e32 v20, v86, v18
	v_fmac_f32_e32 v73, v6, v78
	v_mul_f32_e32 v6, v6, v79
	v_fmamk_f32 v21, v20, 0xbf5db3d7, v2
	v_fmac_f32_e32 v2, 0x3f5db3d7, v20
	v_fma_f32 v10, v10, v78, -v6
	v_fmac_f32_e32 v75, v7, v82
	v_fmac_f32_e32 v76, v5, v84
	ds_read_b32 v77, v57
	ds_read_b32 v78, v59
	;; [unrolled: 1-line block ×4, first 2 shown]
	ds_read2_b32 v[4:5], v66 offset1:63
	ds_read2_b32 v[6:7], v66 offset0:126 offset1:189
	s_waitcnt lgkmcnt(0)
	; wave barrier
	s_waitcnt lgkmcnt(0)
	ds_write_b32 v81, v2 offset:64
	v_lshrrev_b32_e32 v2, 3, v68
	v_fma_f32 v87, v87, v34, -v32
	v_add_f32_e32 v20, v88, v93
	v_mul_u32_u24_e32 v2, 24, v2
	ds_write2_b32 v81, v19, v21 offset1:8
	v_add_f32_e32 v19, v3, v88
	v_fmac_f32_e32 v3, -0.5, v20
	v_or_b32_e32 v2, v2, v43
	v_sub_f32_e32 v20, v87, v89
	v_lshl_add_u32 v2, v2, 2, 0
	v_fmamk_f32 v21, v20, 0xbf5db3d7, v3
	v_fmac_f32_e32 v3, 0x3f5db3d7, v20
	v_lshrrev_b32_e32 v52, 3, v25
	v_add_f32_e32 v19, v19, v93
	ds_write_b32 v2, v3 offset:64
	v_mul_u32_u24_e32 v3, 24, v52
	v_add_f32_e32 v20, v94, v96
	ds_write2_b32 v2, v19, v21 offset1:8
	v_or_b32_e32 v3, v3, v45
	v_add_f32_e32 v19, v0, v94
	v_fma_f32 v0, -0.5, v20, v0
	v_sub_f32_e32 v20, v95, v97
	v_lshl_add_u32 v3, v3, 2, 0
	v_fmamk_f32 v21, v20, 0xbf5db3d7, v0
	v_fmac_f32_e32 v0, 0x3f5db3d7, v20
	ds_write_b32 v3, v0 offset:64
	v_lshrrev_b32_e32 v0, 3, v98
	v_add_f32_e32 v19, v19, v96
	v_add_f32_e32 v20, v99, v100
	v_mul_u32_u24_e32 v0, 24, v0
	ds_write2_b32 v3, v19, v21 offset1:8
	v_add_f32_e32 v19, v1, v99
	v_fmac_f32_e32 v1, -0.5, v20
	v_or_b32_e32 v0, v0, v47
	v_sub_f32_e32 v20, v53, v54
	v_add_f32_e32 v19, v19, v100
	v_lshl_add_u32 v0, v0, 2, 0
	v_fmamk_f32 v21, v20, 0xbf5db3d7, v1
	ds_write2_b32 v0, v19, v21 offset1:8
	v_fmac_f32_e32 v1, 0x3f5db3d7, v20
	v_add_f32_e32 v19, v55, v70
	ds_write_b32 v0, v1 offset:64
	v_add_f32_e32 v1, v28, v55
	v_fmac_f32_e32 v28, -0.5, v19
	v_lshrrev_b32_e32 v19, 3, v67
	v_mul_u32_u24_e32 v19, 24, v19
	v_or_b32_e32 v19, v19, v49
	v_lshl_add_u32 v43, v19, 2, 0
	v_sub_f32_e32 v19, v14, v12
	v_add_f32_e32 v1, v1, v70
	v_fmamk_f32 v20, v19, 0xbf5db3d7, v28
	v_fmac_f32_e32 v28, 0x3f5db3d7, v19
	v_add_f32_e32 v19, v71, v72
	ds_write2_b32 v43, v1, v20 offset1:8
	v_add_f32_e32 v1, v23, v71
	v_fmac_f32_e32 v23, -0.5, v19
	v_lshrrev_b32_e32 v19, 3, v64
	v_mul_u32_u24_e32 v19, 24, v19
	v_or_b32_e32 v19, v19, v51
	v_lshl_add_u32 v51, v19, 2, 0
	v_sub_f32_e32 v19, v15, v13
	v_add_f32_e32 v1, v1, v72
	v_fmamk_f32 v20, v19, 0xbf5db3d7, v23
	ds_write_b32 v43, v28 offset:64
	ds_write2_b32 v51, v1, v20 offset1:8
	v_add_f32_e32 v20, v73, v74
	v_fmac_f32_e32 v23, 0x3f5db3d7, v19
	v_add_f32_e32 v19, v22, v73
	v_fmac_f32_e32 v22, -0.5, v20
	v_sub_f32_e32 v20, v10, v8
	v_fmamk_f32 v21, v20, 0xbf5db3d7, v22
	v_fmac_f32_e32 v22, 0x3f5db3d7, v20
	v_lshrrev_b32_e32 v20, 3, v62
	v_mul_u32_u24_e32 v20, 24, v20
	v_or_b32_e32 v20, v20, v69
	v_add_f32_e32 v1, v4, v86
	v_add_f32_e32 v19, v19, v74
	v_lshl_add_u32 v69, v20, 2, 0
	v_add_f32_e32 v1, v1, v18
	v_add_f32_e32 v18, v86, v18
	ds_write_b32 v51, v23 offset:64
	ds_write2_b32 v69, v19, v21 offset1:8
	v_add_f32_e32 v19, v17, v75
	v_fma_f32 v4, -0.5, v18, v4
	v_add_f32_e32 v18, v19, v76
	v_lshrrev_b32_e32 v19, 3, v61
	v_add_f32_e32 v20, v75, v76
	v_mul_u32_u24_e32 v19, 24, v19
	v_sub_f32_e32 v82, v91, v92
	v_fmac_f32_e32 v17, -0.5, v20
	v_sub_f32_e32 v20, v11, v9
	v_or_b32_e32 v19, v19, v90
	v_fmamk_f32 v21, v20, 0xbf5db3d7, v17
	v_fmac_f32_e32 v17, 0x3f5db3d7, v20
	v_lshl_add_u32 v83, v19, 2, 0
	v_fmamk_f32 v84, v82, 0x3f5db3d7, v4
	v_fmac_f32_e32 v4, 0xbf5db3d7, v82
	ds_write_b32 v69, v22 offset:64
	ds_write2_b32 v83, v18, v21 offset1:8
	ds_write_b32 v83, v17 offset:64
	s_waitcnt lgkmcnt(0)
	; wave barrier
	s_waitcnt lgkmcnt(0)
	ds_read_b32 v49, v57
	ds_read_b32 v47, v59
	ds_read_b32 v45, v42
	ds_read_b32 v17, v56
	ds_read2_b32 v[20:21], v66 offset1:63
	ds_read2_b32 v[40:41], v65 offset0:120 offset1:183
	ds_read2_b32 v[38:39], v46 offset0:112 offset1:175
	;; [unrolled: 1-line block ×9, first 2 shown]
	s_waitcnt lgkmcnt(0)
	; wave barrier
	s_waitcnt lgkmcnt(0)
	ds_write_b32 v81, v4 offset:64
	v_add_f32_e32 v4, v87, v89
	ds_write2_b32 v81, v1, v84 offset1:8
	v_add_f32_e32 v1, v5, v87
	v_fmac_f32_e32 v5, -0.5, v4
	v_sub_f32_e32 v4, v88, v93
	v_add_f32_e32 v1, v1, v89
	v_fmamk_f32 v81, v4, 0x3f5db3d7, v5
	v_fmac_f32_e32 v5, 0xbf5db3d7, v4
	ds_write2_b32 v2, v1, v81 offset1:8
	ds_write_b32 v2, v5 offset:64
	v_add_f32_e32 v2, v95, v97
	v_add_f32_e32 v1, v6, v95
	v_sub_f32_e32 v4, v94, v96
	v_fma_f32 v2, -0.5, v2, v6
	v_add_f32_e32 v6, v53, v54
	v_fmamk_f32 v5, v4, 0x3f5db3d7, v2
	v_fmac_f32_e32 v2, 0xbf5db3d7, v4
	v_add_f32_e32 v4, v7, v53
	v_fmac_f32_e32 v7, -0.5, v6
	v_sub_f32_e32 v6, v99, v100
	v_fmamk_f32 v53, v6, 0x3f5db3d7, v7
	v_fmac_f32_e32 v7, 0xbf5db3d7, v6
	v_add_f32_e32 v6, v77, v14
	v_add_f32_e32 v6, v6, v12
	v_add_f32_e32 v12, v14, v12
	v_fmac_f32_e32 v77, -0.5, v12
	v_sub_f32_e32 v12, v55, v70
	v_fmamk_f32 v14, v12, 0x3f5db3d7, v77
	v_fmac_f32_e32 v77, 0xbf5db3d7, v12
	v_add_f32_e32 v12, v78, v15
	v_add_f32_e32 v12, v12, v13
	;; [unrolled: 7-line block ×4, first 2 shown]
	v_add_f32_e32 v9, v11, v9
	v_add_f32_e32 v1, v1, v97
	v_fmac_f32_e32 v80, -0.5, v9
	v_sub_f32_e32 v9, v75, v76
	v_add_f32_e32 v4, v4, v54
	v_fmamk_f32 v11, v9, 0x3f5db3d7, v80
	v_fmac_f32_e32 v80, 0xbf5db3d7, v9
	ds_write2_b32 v3, v1, v5 offset1:8
	ds_write_b32 v3, v2 offset:64
	ds_write2_b32 v0, v4, v53 offset1:8
	ds_write_b32 v0, v7 offset:64
	;; [unrolled: 2-line block ×6, first 2 shown]
	v_mul_lo_u16_sdwa v0, v24, s2 dst_sel:DWORD dst_unused:UNUSED_PAD src0_sel:BYTE_0 src1_sel:DWORD
	v_lshrrev_b16_e32 v51, 12, v0
	v_mul_lo_u16_e32 v0, 24, v51
	v_mul_lo_u16_sdwa v4, v68, s2 dst_sel:DWORD dst_unused:UNUSED_PAD src0_sel:BYTE_0 src1_sel:DWORD
	v_sub_u16_e32 v53, v24, v0
	v_mov_b32_e32 v43, 4
	v_lshrrev_b16_e32 v69, 12, v4
	v_lshlrev_b32_sdwa v0, v43, v53 dst_sel:DWORD dst_unused:UNUSED_PAD src0_sel:DWORD src1_sel:BYTE_0
	v_mul_lo_u16_e32 v4, 24, v69
	s_waitcnt lgkmcnt(0)
	; wave barrier
	s_waitcnt lgkmcnt(0)
	global_load_dwordx4 v[0:3], v0, s[4:5] offset:176
	v_sub_u16_e32 v88, v68, v4
	v_lshlrev_b32_sdwa v4, v43, v88 dst_sel:DWORD dst_unused:UNUSED_PAD src0_sel:DWORD src1_sel:BYTE_0
	global_load_dwordx4 v[4:7], v4, s[4:5] offset:176
	v_mul_lo_u16_sdwa v8, v25, s2 dst_sel:DWORD dst_unused:UNUSED_PAD src0_sel:BYTE_0 src1_sel:DWORD
	v_lshrrev_b16_e32 v89, 12, v8
	v_mul_lo_u16_sdwa v12, v98, s2 dst_sel:DWORD dst_unused:UNUSED_PAD src0_sel:BYTE_0 src1_sel:DWORD
	s_mov_b32 s2, 0xaaab
	v_mul_lo_u16_e32 v8, 24, v89
	v_mul_u32_u24_sdwa v54, v67, s2 dst_sel:DWORD dst_unused:UNUSED_PAD src0_sel:WORD_0 src1_sel:DWORD
	v_sub_u16_e32 v90, v25, v8
	v_lshrrev_b16_e32 v91, 12, v12
	v_lshrrev_b32_e32 v93, 20, v54
	v_lshlrev_b32_sdwa v8, v43, v90 dst_sel:DWORD dst_unused:UNUSED_PAD src0_sel:DWORD src1_sel:BYTE_0
	v_mul_lo_u16_e32 v12, 24, v91
	v_mul_lo_u16_e32 v54, 24, v93
	global_load_dwordx4 v[8:11], v8, s[4:5] offset:176
	v_sub_u16_e32 v92, v98, v12
	v_sub_u16_e32 v94, v67, v54
	v_lshlrev_b32_sdwa v12, v43, v92 dst_sel:DWORD dst_unused:UNUSED_PAD src0_sel:DWORD src1_sel:BYTE_0
	global_load_dwordx4 v[12:15], v12, s[4:5] offset:176
	v_lshlrev_b32_e32 v54, 4, v94
	global_load_dwordx4 v[70:73], v54, s[4:5] offset:176
	v_mul_u32_u24_sdwa v54, v64, s2 dst_sel:DWORD dst_unused:UNUSED_PAD src0_sel:WORD_0 src1_sel:DWORD
	v_lshrrev_b32_e32 v95, 20, v54
	v_mul_lo_u16_e32 v54, 24, v95
	v_sub_u16_e32 v96, v64, v54
	v_lshlrev_b32_e32 v54, 4, v96
	global_load_dwordx4 v[74:77], v54, s[4:5] offset:176
	v_mul_u32_u24_sdwa v54, v62, s2 dst_sel:DWORD dst_unused:UNUSED_PAD src0_sel:WORD_0 src1_sel:DWORD
	v_lshrrev_b32_e32 v97, 20, v54
	v_mul_lo_u16_e32 v54, 24, v97
	v_sub_u16_e32 v99, v62, v54
	;; [unrolled: 6-line block ×3, first 2 shown]
	v_lshlrev_b32_e32 v54, 4, v101
	global_load_dwordx4 v[82:85], v54, s[4:5] offset:176
	ds_read2_b32 v[54:55], v65 offset0:120 offset1:183
	ds_read2_b32 v[86:87], v46 offset0:112 offset1:175
	s_mov_b32 s2, 0x5040100
	s_waitcnt vmcnt(7) lgkmcnt(1)
	v_mul_f32_e32 v102, v54, v1
	v_mul_f32_e32 v1, v40, v1
	v_fmac_f32_e32 v102, v40, v0
	v_fma_f32 v40, v54, v0, -v1
	s_waitcnt lgkmcnt(0)
	v_mul_f32_e32 v54, v86, v3
	v_mul_f32_e32 v0, v38, v3
	v_fmac_f32_e32 v54, v38, v2
	v_fma_f32 v38, v86, v2, -v0
	s_waitcnt vmcnt(6)
	v_mul_f32_e32 v86, v55, v5
	v_mul_f32_e32 v0, v41, v5
	v_fmac_f32_e32 v86, v41, v4
	v_fma_f32 v41, v55, v4, -v0
	ds_read2_b32 v[0:1], v58 offset0:118 offset1:181
	v_mul_f32_e32 v55, v87, v7
	v_mul_f32_e32 v2, v39, v7
	v_fmac_f32_e32 v55, v39, v6
	v_fma_f32 v39, v87, v6, -v2
	ds_read2_b32 v[2:3], v60 offset0:110 offset1:173
	s_waitcnt vmcnt(5) lgkmcnt(1)
	v_mul_f32_e32 v87, v0, v9
	v_mul_f32_e32 v4, v36, v9
	v_fmac_f32_e32 v87, v36, v8
	v_fma_f32 v36, v0, v8, -v4
	v_mul_f32_e32 v0, v34, v11
	s_waitcnt lgkmcnt(0)
	v_fma_f32 v104, v2, v10, -v0
	s_waitcnt vmcnt(4)
	v_mul_f32_e32 v105, v1, v13
	v_mul_f32_e32 v0, v37, v13
	;; [unrolled: 1-line block ×3, first 2 shown]
	v_fmac_f32_e32 v105, v37, v12
	v_fma_f32 v37, v1, v12, -v0
	ds_read2_b32 v[0:1], v48 offset0:116 offset1:179
	v_mul_f32_e32 v2, v35, v15
	v_mul_f32_e32 v106, v3, v15
	v_fma_f32 v107, v3, v14, -v2
	ds_read2_b32 v[2:3], v63 offset0:108 offset1:171
	s_waitcnt vmcnt(3) lgkmcnt(1)
	v_mul_f32_e32 v108, v0, v71
	v_mul_f32_e32 v4, v32, v71
	v_fmac_f32_e32 v108, v32, v70
	v_fma_f32 v70, v0, v70, -v4
	s_waitcnt lgkmcnt(0)
	v_mul_f32_e32 v71, v2, v73
	v_mul_f32_e32 v0, v30, v73
	v_fmac_f32_e32 v71, v30, v72
	v_fma_f32 v30, v2, v72, -v0
	s_waitcnt vmcnt(2)
	v_mul_f32_e32 v0, v33, v75
	v_mul_f32_e32 v72, v1, v75
	v_fma_f32 v73, v1, v74, -v0
	ds_read2_b32 v[0:1], v44 offset0:114 offset1:177
	v_mul_f32_e32 v2, v31, v77
	v_fmac_f32_e32 v72, v33, v74
	v_mul_f32_e32 v74, v3, v77
	v_fma_f32 v75, v3, v76, -v2
	ds_read2_b32 v[2:3], v50 offset0:106 offset1:169
	s_waitcnt vmcnt(1)
	v_mul_f32_e32 v4, v28, v79
	v_fmac_f32_e32 v74, v31, v76
	s_waitcnt lgkmcnt(1)
	v_mul_f32_e32 v76, v0, v79
	v_fma_f32 v77, v0, v78, -v4
	v_mul_f32_e32 v0, v22, v81
	v_fmac_f32_e32 v76, v28, v78
	s_waitcnt lgkmcnt(0)
	v_mul_f32_e32 v78, v2, v81
	v_fma_f32 v79, v2, v80, -v0
	s_waitcnt vmcnt(0)
	v_mul_f32_e32 v0, v29, v83
	v_fmac_f32_e32 v78, v22, v80
	v_fma_f32 v81, v1, v82, -v0
	v_mul_f32_e32 v0, v23, v85
	v_mov_b32_e32 v22, 2
	v_mul_f32_e32 v80, v1, v83
	v_fma_f32 v83, v3, v84, -v0
	v_mul_u32_u24_e32 v0, 0x120, v51
	v_lshlrev_b32_sdwa v1, v22, v53 dst_sel:DWORD dst_unused:UNUSED_PAD src0_sel:DWORD src1_sel:BYTE_0
	v_add3_u32 v51, 0, v0, v1
	v_add_f32_e32 v1, v102, v54
	v_add_f32_e32 v0, v20, v102
	v_fma_f32 v1, -0.5, v1, v20
	v_sub_f32_e32 v2, v40, v38
	v_fmac_f32_e32 v80, v29, v82
	v_mul_f32_e32 v82, v3, v85
	v_add_f32_e32 v0, v0, v54
	v_fmamk_f32 v3, v2, 0xbf5db3d7, v1
	v_fmac_f32_e32 v1, 0x3f5db3d7, v2
	v_add_f32_e32 v2, v86, v55
	v_fmac_f32_e32 v103, v34, v10
	v_fmac_f32_e32 v106, v35, v14
	;; [unrolled: 1-line block ×3, first 2 shown]
	ds_read_b32 v53, v57
	ds_read_b32 v84, v59
	;; [unrolled: 1-line block ×4, first 2 shown]
	ds_read2_b32 v[28:29], v66 offset1:63
	ds_read2_b32 v[34:35], v66 offset0:126 offset1:189
	s_waitcnt lgkmcnt(0)
	; wave barrier
	s_waitcnt lgkmcnt(0)
	ds_write2_b32 v51, v0, v3 offset1:24
	v_add_f32_e32 v0, v21, v86
	v_fmac_f32_e32 v21, -0.5, v2
	v_mul_u32_u24_e32 v2, 0x120, v69
	v_lshlrev_b32_sdwa v3, v22, v88 dst_sel:DWORD dst_unused:UNUSED_PAD src0_sel:DWORD src1_sel:BYTE_0
	ds_write_b32 v51, v1 offset:192
	v_sub_f32_e32 v1, v41, v39
	v_add3_u32 v69, 0, v2, v3
	v_add_f32_e32 v0, v0, v55
	v_fmamk_f32 v2, v1, 0xbf5db3d7, v21
	ds_write2_b32 v69, v0, v2 offset1:24
	v_fmac_f32_e32 v21, 0x3f5db3d7, v1
	v_mul_u32_u24_e32 v0, 0x120, v89
	v_lshlrev_b32_sdwa v1, v22, v90 dst_sel:DWORD dst_unused:UNUSED_PAD src0_sel:DWORD src1_sel:BYTE_0
	v_add3_u32 v88, 0, v0, v1
	v_add_f32_e32 v1, v87, v103
	v_add_f32_e32 v0, v18, v87
	v_fma_f32 v1, -0.5, v1, v18
	v_sub_f32_e32 v2, v36, v104
	v_add_f32_e32 v0, v0, v103
	v_fmamk_f32 v3, v2, 0xbf5db3d7, v1
	v_fmac_f32_e32 v1, 0x3f5db3d7, v2
	v_add_f32_e32 v2, v105, v106
	ds_write_b32 v69, v21 offset:192
	ds_write2_b32 v88, v0, v3 offset1:24
	v_add_f32_e32 v0, v19, v105
	v_fmac_f32_e32 v19, -0.5, v2
	v_mul_u32_u24_e32 v2, 0x120, v91
	v_lshlrev_b32_sdwa v3, v22, v92 dst_sel:DWORD dst_unused:UNUSED_PAD src0_sel:DWORD src1_sel:BYTE_0
	ds_write_b32 v88, v1 offset:192
	v_sub_f32_e32 v1, v37, v107
	v_add3_u32 v89, 0, v2, v3
	v_add_f32_e32 v0, v0, v106
	v_fmamk_f32 v2, v1, 0xbf5db3d7, v19
	v_fmac_f32_e32 v19, 0x3f5db3d7, v1
	v_add_f32_e32 v1, v108, v71
	ds_write2_b32 v89, v0, v2 offset1:24
	v_add_f32_e32 v0, v49, v108
	v_fmac_f32_e32 v49, -0.5, v1
	v_perm_b32 v1, v95, v93, s2
	v_pk_mul_lo_u16 v1, v1, s3 op_sel_hi:[1,0]
	v_lshlrev_b32_e32 v2, 2, v94
	v_and_b32_e32 v3, 0xffe0, v1
	v_add3_u32 v90, 0, v3, v2
	v_sub_f32_e32 v2, v70, v30
	v_add_f32_e32 v0, v0, v71
	v_fmamk_f32 v3, v2, 0xbf5db3d7, v49
	v_fmac_f32_e32 v49, 0x3f5db3d7, v2
	v_add_f32_e32 v2, v72, v74
	ds_write_b32 v89, v19 offset:192
	ds_write2_b32 v90, v0, v3 offset1:24
	v_add_f32_e32 v0, v47, v72
	v_fmac_f32_e32 v47, -0.5, v2
	v_lshrrev_b32_e32 v1, 16, v1
	v_lshlrev_b32_e32 v2, 2, v96
	v_add3_u32 v91, 0, v1, v2
	v_sub_f32_e32 v1, v73, v75
	v_add_f32_e32 v0, v0, v74
	v_fmamk_f32 v2, v1, 0xbf5db3d7, v47
	v_fmac_f32_e32 v47, 0x3f5db3d7, v1
	v_add_f32_e32 v1, v76, v78
	ds_write_b32 v90, v49 offset:192
	ds_write2_b32 v91, v0, v2 offset1:24
	v_add_f32_e32 v0, v45, v76
	v_fmac_f32_e32 v45, -0.5, v1
	v_perm_b32 v1, v100, v97, s2
	v_pk_mul_lo_u16 v1, v1, s3 op_sel_hi:[1,0]
	v_lshlrev_b32_e32 v2, 2, v99
	v_and_b32_e32 v3, 0xffe0, v1
	ds_write_b32 v91, v47 offset:192
	v_add3_u32 v47, 0, v3, v2
	v_sub_f32_e32 v2, v77, v79
	v_add_f32_e32 v0, v0, v78
	v_fmamk_f32 v3, v2, 0xbf5db3d7, v45
	v_fmac_f32_e32 v45, 0x3f5db3d7, v2
	v_add_f32_e32 v2, v80, v82
	ds_write2_b32 v47, v0, v3 offset1:24
	v_add_f32_e32 v0, v17, v80
	v_fmac_f32_e32 v17, -0.5, v2
	v_lshrrev_b32_e32 v1, 16, v1
	v_lshlrev_b32_e32 v2, 2, v101
	ds_write_b32 v47, v45 offset:192
	v_add3_u32 v45, 0, v1, v2
	v_sub_f32_e32 v1, v81, v83
	v_add_f32_e32 v0, v0, v82
	v_fmamk_f32 v2, v1, 0xbf5db3d7, v17
	ds_write2_b32 v45, v0, v2 offset1:24
	v_add_f32_e32 v0, v28, v40
	v_add_f32_e32 v49, v0, v38
	;; [unrolled: 1-line block ×3, first 2 shown]
	v_sub_f32_e32 v38, v102, v54
	v_fma_f32 v28, -0.5, v0, v28
	v_fmac_f32_e32 v17, 0x3f5db3d7, v1
	ds_write_b32 v45, v17 offset:192
	v_fmamk_f32 v17, v38, 0x3f5db3d7, v28
	v_fmac_f32_e32 v28, 0xbf5db3d7, v38
	s_waitcnt lgkmcnt(0)
	; wave barrier
	s_waitcnt lgkmcnt(0)
	ds_read2_b32 v[2:3], v66 offset1:63
	ds_read2_b32 v[20:21], v65 offset0:120 offset1:183
	ds_read2_b32 v[18:19], v46 offset0:112 offset1:175
	;; [unrolled: 1-line block ×9, first 2 shown]
	ds_read_b32 v33, v57
	ds_read_b32 v32, v59
	;; [unrolled: 1-line block ×4, first 2 shown]
	s_waitcnt lgkmcnt(0)
	; wave barrier
	s_waitcnt lgkmcnt(0)
	ds_write_b32 v51, v28 offset:192
	v_add_f32_e32 v28, v41, v39
	ds_write2_b32 v51, v49, v17 offset1:24
	v_add_f32_e32 v17, v29, v41
	v_fmac_f32_e32 v29, -0.5, v28
	v_sub_f32_e32 v28, v86, v55
	v_add_f32_e32 v17, v17, v39
	v_fmamk_f32 v38, v28, 0x3f5db3d7, v29
	v_fmac_f32_e32 v29, 0xbf5db3d7, v28
	v_add_f32_e32 v28, v36, v104
	ds_write2_b32 v69, v17, v38 offset1:24
	ds_write_b32 v69, v29 offset:192
	v_add_f32_e32 v17, v34, v36
	v_sub_f32_e32 v29, v87, v103
	v_fma_f32 v28, -0.5, v28, v34
	v_add_f32_e32 v17, v17, v104
	v_fmamk_f32 v34, v29, 0x3f5db3d7, v28
	v_fmac_f32_e32 v28, 0xbf5db3d7, v29
	v_add_f32_e32 v29, v37, v107
	ds_write2_b32 v88, v17, v34 offset1:24
	v_add_f32_e32 v17, v35, v37
	v_fmac_f32_e32 v35, -0.5, v29
	v_sub_f32_e32 v29, v105, v106
	v_fmamk_f32 v34, v29, 0x3f5db3d7, v35
	v_fmac_f32_e32 v35, 0xbf5db3d7, v29
	v_add_f32_e32 v29, v53, v70
	v_add_f32_e32 v29, v29, v30
	;; [unrolled: 1-line block ×3, first 2 shown]
	v_fmac_f32_e32 v53, -0.5, v30
	v_sub_f32_e32 v30, v108, v71
	v_add_f32_e32 v37, v73, v75
	v_fmamk_f32 v36, v30, 0x3f5db3d7, v53
	v_fmac_f32_e32 v53, 0xbf5db3d7, v30
	v_add_f32_e32 v30, v84, v73
	v_fmac_f32_e32 v84, -0.5, v37
	v_sub_f32_e32 v37, v72, v74
	v_add_f32_e32 v39, v77, v79
	v_fmamk_f32 v38, v37, 0x3f5db3d7, v84
	v_fmac_f32_e32 v84, 0xbf5db3d7, v37
	v_add_f32_e32 v37, v85, v77
	v_fmac_f32_e32 v85, -0.5, v39
	v_sub_f32_e32 v39, v76, v78
	v_add_f32_e32 v41, v81, v83
	v_add_f32_e32 v17, v17, v107
	v_fmamk_f32 v40, v39, 0x3f5db3d7, v85
	v_fmac_f32_e32 v85, 0xbf5db3d7, v39
	v_add_f32_e32 v39, v109, v81
	v_fmac_f32_e32 v109, -0.5, v41
	v_sub_f32_e32 v41, v80, v82
	v_add_f32_e32 v30, v30, v75
	v_add_f32_e32 v37, v37, v79
	;; [unrolled: 1-line block ×3, first 2 shown]
	v_fmamk_f32 v49, v41, 0x3f5db3d7, v109
	v_fmac_f32_e32 v109, 0xbf5db3d7, v41
	ds_write_b32 v88, v28 offset:192
	ds_write2_b32 v89, v17, v34 offset1:24
	ds_write_b32 v89, v35 offset:192
	ds_write2_b32 v90, v29, v36 offset1:24
	;; [unrolled: 2-line block ×5, first 2 shown]
	ds_write_b32 v45, v109 offset:192
	v_mov_b32_e32 v17, 0
	v_lshl_add_u64 v[28:29], v[16:17], 3, s[4:5]
	v_add_u32_e32 v16, -9, v24
	v_cndmask_b32_e32 v30, v16, v68, vcc
	v_lshlrev_b32_e32 v16, 1, v30
	v_lshl_add_u64 v[16:17], v[16:17], 3, s[4:5]
	s_waitcnt lgkmcnt(0)
	; wave barrier
	s_waitcnt lgkmcnt(0)
	global_load_dwordx4 v[68:71], v[16:17], off offset:560
	v_mov_b32_e32 v16, 57
	global_load_dwordx4 v[34:37], v[28:29], off offset:560
	v_mul_lo_u16_sdwa v17, v25, v16 dst_sel:DWORD dst_unused:UNUSED_PAD src0_sel:BYTE_0 src1_sel:DWORD
	v_mul_lo_u16_sdwa v16, v98, v16 dst_sel:DWORD dst_unused:UNUSED_PAD src0_sel:BYTE_0 src1_sel:DWORD
	v_lshrrev_b16_e32 v45, 12, v17
	v_lshrrev_b16_e32 v51, 12, v16
	v_mul_lo_u16_e32 v17, 0x48, v45
	v_mul_lo_u16_e32 v16, 0x48, v51
	v_sub_u16_e32 v47, v25, v17
	v_sub_u16_e32 v53, v98, v16
	v_lshlrev_b32_sdwa v17, v43, v47 dst_sel:DWORD dst_unused:UNUSED_PAD src0_sel:DWORD src1_sel:BYTE_0
	v_lshlrev_b32_sdwa v16, v43, v53 dst_sel:DWORD dst_unused:UNUSED_PAD src0_sel:DWORD src1_sel:BYTE_0
	s_mov_b32 s2, 0xe38f
	global_load_dwordx4 v[72:75], v17, s[4:5] offset:560
	global_load_dwordx4 v[76:79], v16, s[4:5] offset:560
	v_mul_u32_u24_sdwa v16, v67, s2 dst_sel:DWORD dst_unused:UNUSED_PAD src0_sel:WORD_0 src1_sel:DWORD
	v_lshrrev_b32_e32 v43, 22, v16
	v_mul_lo_u16_e32 v16, 0x48, v43
	v_sub_u16_e32 v54, v67, v16
	v_lshlrev_b32_e32 v16, 4, v54
	global_load_dwordx4 v[80:83], v16, s[4:5] offset:560
	v_mul_u32_u24_sdwa v16, v64, s2 dst_sel:DWORD dst_unused:UNUSED_PAD src0_sel:WORD_0 src1_sel:DWORD
	v_lshrrev_b32_e32 v55, 22, v16
	v_mul_lo_u16_e32 v16, 0x48, v55
	v_sub_u16_e32 v96, v64, v16
	v_lshlrev_b32_e32 v16, 4, v96
	;; [unrolled: 6-line block ×4, first 2 shown]
	global_load_dwordx4 v[92:95], v16, s[4:5] offset:560
	ds_read2_b32 v[28:29], v65 offset0:120 offset1:183
	ds_read2_b32 v[40:41], v46 offset0:112 offset1:175
	v_cmp_lt_u32_e32 vcc, 8, v24
	v_lshlrev_b32_e32 v30, 2, v30
	v_cmp_gt_u32_e64 s[2:3], 27, v24
	s_waitcnt vmcnt(6) lgkmcnt(1)
	v_mul_f32_e32 v16, v28, v35
	v_mul_f32_e32 v17, v20, v35
	v_fmac_f32_e32 v16, v20, v34
	v_fma_f32 v38, v28, v34, -v17
	s_waitcnt lgkmcnt(0)
	v_mul_f32_e32 v20, v40, v37
	v_mul_f32_e32 v17, v18, v37
	ds_read2_b32 v[34:35], v58 offset0:118 offset1:181
	v_fmac_f32_e32 v20, v18, v36
	v_fma_f32 v62, v40, v36, -v17
	ds_read2_b32 v[36:37], v60 offset0:110 offset1:173
	v_mul_f32_e32 v18, v21, v69
	v_mul_f32_e32 v17, v29, v69
	v_fma_f32 v49, v29, v68, -v18
	v_mul_f32_e32 v18, v19, v71
	v_fmac_f32_e32 v17, v21, v68
	v_mul_f32_e32 v21, v41, v71
	v_fma_f32 v65, v41, v70, -v18
	s_waitcnt vmcnt(5) lgkmcnt(1)
	v_mul_f32_e32 v18, v34, v73
	v_fmac_f32_e32 v21, v19, v70
	v_fmac_f32_e32 v18, v14, v72
	v_mul_f32_e32 v14, v14, v73
	s_waitcnt lgkmcnt(0)
	v_mul_f32_e32 v19, v36, v75
	v_fma_f32 v39, v34, v72, -v14
	v_fmac_f32_e32 v19, v12, v74
	v_mul_f32_e32 v12, v12, v75
	s_waitcnt vmcnt(4)
	v_mul_f32_e32 v14, v15, v77
	v_fma_f32 v64, v36, v74, -v12
	v_mul_f32_e32 v12, v35, v77
	v_fma_f32 v40, v35, v76, -v14
	ds_read2_b32 v[34:35], v63 offset0:108 offset1:171
	ds_read2_b32 v[28:29], v48 offset0:116 offset1:179
	v_mul_f32_e32 v14, v37, v79
	v_fmac_f32_e32 v12, v15, v76
	v_fmac_f32_e32 v14, v13, v78
	v_mul_f32_e32 v13, v13, v79
	s_waitcnt vmcnt(3) lgkmcnt(1)
	v_mul_f32_e32 v15, v34, v83
	v_fma_f32 v67, v37, v78, -v13
	s_waitcnt lgkmcnt(0)
	v_mul_f32_e32 v13, v28, v81
	v_fmac_f32_e32 v15, v8, v82
	v_mul_f32_e32 v8, v8, v83
	v_fmac_f32_e32 v13, v10, v80
	v_mul_f32_e32 v10, v10, v81
	v_fma_f32 v68, v34, v82, -v8
	s_waitcnt vmcnt(2)
	v_mul_f32_e32 v8, v11, v85
	v_fma_f32 v61, v28, v80, -v10
	v_mul_f32_e32 v10, v29, v85
	v_fma_f32 v41, v29, v84, -v8
	ds_read2_b32 v[28:29], v44 offset0:114 offset1:177
	v_mul_f32_e32 v8, v9, v87
	v_fmac_f32_e32 v10, v11, v84
	v_mul_f32_e32 v11, v35, v87
	v_fma_f32 v69, v35, v86, -v8
	ds_read2_b32 v[34:35], v50 offset0:106 offset1:169
	v_fmac_f32_e32 v11, v9, v86
	s_waitcnt vmcnt(1) lgkmcnt(1)
	v_mul_f32_e32 v9, v28, v89
	v_fmac_f32_e32 v9, v6, v88
	v_mul_f32_e32 v6, v6, v89
	s_waitcnt lgkmcnt(0)
	v_mul_f32_e32 v63, v34, v91
	v_fma_f32 v70, v28, v88, -v6
	v_fmac_f32_e32 v63, v4, v90
	v_mul_f32_e32 v4, v4, v91
	v_add_f32_e32 v6, v2, v16
	v_fma_f32 v71, v34, v90, -v4
	s_waitcnt vmcnt(0)
	v_mul_f32_e32 v37, v29, v93
	v_mul_f32_e32 v36, v29, v92
	;; [unrolled: 1-line block ×4, first 2 shown]
	v_add_f32_e32 v34, v6, v20
	v_add_f32_e32 v6, v16, v20
	v_fmac_f32_e32 v37, v7, v92
	v_mul_f32_e32 v28, v7, v93
	v_fmac_f32_e32 v29, v5, v94
	v_fma_f32 v8, v35, v94, -v4
	ds_read2_b32 v[4:5], v66 offset1:63
	v_fma_f32 v35, -0.5, v6, v2
	ds_read_b32 v74, v57
	ds_read_b32 v73, v59
	ds_read_b32 v72, v42
	ds_read_b32 v2, v56
	ds_read2_b32 v[6:7], v66 offset0:126 offset1:189
	v_sub_f32_e32 v42, v38, v62
	v_fmamk_f32 v56, v42, 0xbf5db3d7, v35
	v_fmac_f32_e32 v35, 0x3f5db3d7, v42
	s_waitcnt lgkmcnt(0)
	; wave barrier
	s_waitcnt lgkmcnt(0)
	ds_write_b32 v66, v35 offset:576
	v_mov_b32_e32 v35, 0x360
	ds_write2_b32 v66, v34, v56 offset1:72
	v_add_f32_e32 v34, v3, v17
	v_add_f32_e32 v42, v17, v21
	v_cndmask_b32_e32 v35, 0, v35, vcc
	v_fmac_f32_e32 v3, -0.5, v42
	v_add3_u32 v75, 0, v35, v30
	v_add_f32_e32 v30, v34, v21
	v_sub_f32_e32 v34, v49, v65
	v_fmamk_f32 v35, v34, 0xbf5db3d7, v3
	ds_write2_b32 v75, v30, v35 offset1:72
	v_fmac_f32_e32 v3, 0x3f5db3d7, v34
	v_mul_u32_u24_e32 v30, 0x360, v45
	v_lshlrev_b32_sdwa v34, v22, v47 dst_sel:DWORD dst_unused:UNUSED_PAD src0_sel:DWORD src1_sel:BYTE_0
	v_add3_u32 v78, 0, v30, v34
	v_add_f32_e32 v30, v18, v19
	ds_write_b32 v75, v3 offset:576
	v_add_f32_e32 v3, v0, v18
	v_fma_f32 v0, -0.5, v30, v0
	v_sub_f32_e32 v30, v39, v64
	v_add_f32_e32 v3, v3, v19
	v_fmamk_f32 v34, v30, 0xbf5db3d7, v0
	v_fmac_f32_e32 v0, 0x3f5db3d7, v30
	v_add_f32_e32 v30, v12, v14
	ds_write2_b32 v78, v3, v34 offset1:72
	v_add_f32_e32 v3, v1, v12
	v_fmac_f32_e32 v1, -0.5, v30
	v_sub_f32_e32 v30, v40, v67
	ds_write_b32 v78, v0 offset:576
	v_lshlrev_b32_sdwa v0, v22, v53 dst_sel:DWORD dst_unused:UNUSED_PAD src0_sel:DWORD src1_sel:BYTE_0
	v_mul_u32_u24_e32 v22, 0x360, v51
	v_fmamk_f32 v34, v30, 0xbf5db3d7, v1
	v_add3_u32 v22, 0, v22, v0
	v_add_f32_e32 v0, v3, v14
	ds_write2_b32 v22, v0, v34 offset1:72
	v_add_f32_e32 v0, v10, v11
	v_add_f32_e32 v3, v32, v10
	v_fmac_f32_e32 v32, -0.5, v0
	v_sub_f32_e32 v0, v41, v69
	v_fmamk_f32 v34, v0, 0xbf5db3d7, v32
	v_fmac_f32_e32 v32, 0x3f5db3d7, v0
	v_add_f32_e32 v0, v9, v63
	v_fmac_f32_e32 v1, 0x3f5db3d7, v30
	v_add_f32_e32 v30, v13, v15
	v_add_f32_e32 v45, v23, v9
	v_fmac_f32_e32 v23, -0.5, v0
	v_sub_f32_e32 v0, v70, v71
	v_add_f32_e32 v35, v33, v13
	v_fmac_f32_e32 v33, -0.5, v30
	v_sub_f32_e32 v30, v61, v68
	v_fmamk_f32 v47, v0, 0xbf5db3d7, v23
	v_fmac_f32_e32 v23, 0x3f5db3d7, v0
	v_add_f32_e32 v0, v37, v29
	v_fmamk_f32 v42, v30, 0xbf5db3d7, v33
	v_fmac_f32_e32 v33, 0x3f5db3d7, v30
	ds_write_b32 v22, v1 offset:576
	v_add_f32_e32 v30, v31, v37
	v_fmac_f32_e32 v31, -0.5, v0
	v_pk_add_f32 v[0:1], v[36:37], v[28:29] neg_lo:[0,1] neg_hi:[0,1]
	v_mov_b32_e32 v28, v29
	v_sub_f32_e32 v36, v0, v8
	v_mul_f32_e32 v29, 0x3f5db3d7, v36
	v_pk_add_f32 v[28:29], v[30:31], v[28:29]
	v_fmac_f32_e32 v31, 0xbf5db3d7, v36
	v_mul_u32_u24_e32 v36, 0x360, v43
	v_lshlrev_b32_e32 v37, 2, v54
	v_add_f32_e32 v30, v35, v15
	v_add3_u32 v79, 0, v36, v37
	ds_write2_b32 v79, v30, v42 offset1:72
	ds_write_b32 v79, v33 offset:576
	v_mul_u32_u24_e32 v30, 0x360, v55
	v_lshlrev_b32_e32 v33, 2, v96
	v_add_f32_e32 v3, v3, v11
	v_add3_u32 v33, 0, v30, v33
	ds_write2_b32 v33, v3, v34 offset1:72
	ds_write_b32 v33, v32 offset:576
	;; [unrolled: 6-line block ×3, first 2 shown]
	v_lshl_add_u32 v23, v100, 2, 0
	v_add_u32_e32 v3, 0x1400, v23
	ds_write2_b32 v3, v28, v31 offset0:16 offset1:88
	ds_write_b32 v23, v29 offset:5760
	v_add_u32_e32 v3, 0x400, v66
	s_waitcnt lgkmcnt(0)
	; wave barrier
	s_waitcnt lgkmcnt(0)
	ds_read2_b32 v[56:57], v66 offset1:63
	ds_read2_b32 v[42:43], v66 offset0:126 offset1:216
	ds_read2_b32 v[76:77], v3 offset0:176 offset1:239
	ds_read2_b32 v[82:83], v58 offset0:46 offset1:136
	ds_read2_b32 v[54:55], v44 offset0:96 offset1:159
	ds_read2_b32 v[44:45], v46 offset0:94 offset1:184
	ds_read2_b32 v[58:59], v50 offset0:16 offset1:79
	ds_read2_b32 v[46:47], v3 offset0:23 offset1:86
	ds_read2_b32 v[50:51], v48 offset0:71 offset1:134
	ds_read2_b32 v[80:81], v60 offset0:119 offset1:182
	ds_read_b32 v53, v66 offset:5688
	v_cmp_lt_u32_e32 vcc, 26, v24
	s_and_saveexec_b64 s[6:7], vcc
	s_xor_b64 s[6:7], exec, s[6:7]
	s_or_saveexec_b64 s[6:7], s[6:7]
                                        ; implicit-def: $vgpr34
                                        ; implicit-def: $vgpr32
                                        ; implicit-def: $vgpr37
	s_xor_b64 exec, exec, s[6:7]
	s_cbranch_execz .LBB0_13
; %bb.12:
	v_add_u32_e32 v3, 0x280, v66
	ds_read2_b32 v[30:31], v3 offset0:29 offset1:245
	v_add_u32_e32 v3, 0x980, v66
	ds_read2_b32 v[36:37], v3 offset0:13 offset1:229
	;; [unrolled: 2-line block ×3, first 2 shown]
	ds_read_b32 v32, v66 offset:5940
	s_waitcnt lgkmcnt(3)
	v_mov_b32_e32 v28, v30
	s_waitcnt lgkmcnt(2)
	v_mov_b32_e32 v29, v36
.LBB0_13:
	s_or_b64 exec, exec, s[6:7]
	v_add_f32_e32 v3, v4, v38
	v_add_f32_e32 v30, v3, v62
	;; [unrolled: 1-line block ×3, first 2 shown]
	v_fma_f32 v4, -0.5, v3, v4
	v_sub_f32_e32 v3, v16, v20
	v_fmamk_f32 v16, v3, 0x3f5db3d7, v4
	v_fmac_f32_e32 v4, 0xbf5db3d7, v3
	v_add_f32_e32 v3, v5, v49
	v_add_f32_e32 v20, v3, v65
	;; [unrolled: 1-line block ×3, first 2 shown]
	v_fmac_f32_e32 v5, -0.5, v3
	v_sub_f32_e32 v3, v17, v21
	v_fmamk_f32 v17, v3, 0x3f5db3d7, v5
	v_fmac_f32_e32 v5, 0xbf5db3d7, v3
	v_add_f32_e32 v3, v6, v39
	v_add_f32_e32 v21, v3, v64
	;; [unrolled: 1-line block ×3, first 2 shown]
	v_fma_f32 v6, -0.5, v3, v6
	v_sub_f32_e32 v3, v18, v19
	v_fmamk_f32 v18, v3, 0x3f5db3d7, v6
	v_fmac_f32_e32 v6, 0xbf5db3d7, v3
	v_add_f32_e32 v3, v7, v40
	v_add_f32_e32 v19, v3, v67
	v_add_f32_e32 v3, v40, v67
	v_fmac_f32_e32 v7, -0.5, v3
	v_sub_f32_e32 v3, v12, v14
	v_fmamk_f32 v14, v3, 0x3f5db3d7, v7
	v_fmac_f32_e32 v7, 0xbf5db3d7, v3
	v_add_f32_e32 v3, v74, v61
	v_add_f32_e32 v36, v3, v68
	v_add_f32_e32 v3, v61, v68
	v_fmac_f32_e32 v74, -0.5, v3
	v_sub_f32_e32 v3, v13, v15
	v_fmamk_f32 v15, v3, 0x3f5db3d7, v74
	v_fmac_f32_e32 v74, 0xbf5db3d7, v3
	v_add_f32_e32 v3, v73, v41
	v_add_f32_e32 v48, v3, v69
	v_add_f32_e32 v3, v41, v69
	v_fmac_f32_e32 v73, -0.5, v3
	v_sub_f32_e32 v3, v10, v11
	v_fmamk_f32 v41, v3, 0x3f5db3d7, v73
	v_fmac_f32_e32 v73, 0xbf5db3d7, v3
	v_add_f32_e32 v3, v72, v70
	v_add_f32_e32 v49, v3, v71
	v_add_f32_e32 v3, v70, v71
	v_fmac_f32_e32 v72, -0.5, v3
	v_sub_f32_e32 v3, v9, v63
	v_fmamk_f32 v60, v3, 0x3f5db3d7, v72
	v_fmac_f32_e32 v72, 0xbf5db3d7, v3
	v_mov_b32_e32 v3, 0x3f5db3d7
	v_pk_add_f32 v[10:11], v[2:3], v[0:1]
	v_pk_mul_f32 v[12:13], v[2:3], v[0:1]
	v_add_f32_e32 v0, v0, v8
	v_fmac_f32_e32 v2, -0.5, v0
	v_mov_b32_e32 v11, v13
	v_mov_b32_e32 v9, v2
	v_pk_add_f32 v[38:39], v[10:11], v[8:9]
	v_add_u32_e32 v0, 0x1400, v23
	v_add_u32_e32 v1, 0x800, v66
	v_sub_f32_e32 v40, v2, v13
	s_waitcnt lgkmcnt(0)
	; wave barrier
	s_waitcnt lgkmcnt(0)
	ds_write2_b32 v66, v30, v16 offset1:72
	ds_write_b32 v66, v4 offset:576
	ds_write2_b32 v75, v20, v17 offset1:72
	ds_write_b32 v75, v5 offset:576
	;; [unrolled: 2-line block ×7, first 2 shown]
	ds_write2_b32 v0, v38, v39 offset0:16 offset1:88
	ds_write_b32 v23, v40 offset:5760
	s_waitcnt lgkmcnt(0)
	; wave barrier
	s_waitcnt lgkmcnt(0)
	ds_read2_b32 v[72:73], v66 offset1:63
	ds_read2_b32 v[62:63], v66 offset0:126 offset1:216
	ds_read2_b32 v[92:93], v1 offset0:46 offset1:136
	v_add_u32_e32 v1, 0xc00, v66
	ds_read2_b32 v[74:75], v1 offset0:96 offset1:159
	v_add_u32_e32 v1, 0xe00, v66
	v_add_u32_e32 v0, 0x400, v66
	ds_read2_b32 v[60:61], v1 offset0:94 offset1:184
	v_add_u32_e32 v1, 0x1400, v66
	ds_read2_b32 v[94:95], v0 offset0:176 offset1:239
	ds_read2_b32 v[78:79], v1 offset0:16 offset1:79
	;; [unrolled: 1-line block ×3, first 2 shown]
	v_add_u32_e32 v0, 0xa00, v66
	ds_read2_b32 v[68:69], v0 offset0:71 offset1:134
	v_add_u32_e32 v0, 0x1000, v66
	ds_read2_b32 v[96:97], v0 offset0:119 offset1:182
	ds_read_b32 v67, v66 offset:5688
	s_and_saveexec_b64 s[6:7], vcc
	s_xor_b64 s[6:7], exec, s[6:7]
                                        ; implicit-def: $vgpr49
                                        ; implicit-def: $vgpr41
; %bb.14:
                                        ; implicit-def: $vgpr66
; %bb.15:
	s_or_saveexec_b64 s[6:7], s[6:7]
                                        ; implicit-def: $vgpr48
                                        ; implicit-def: $vgpr30
	s_xor_b64 exec, exec, s[6:7]
	s_cbranch_execz .LBB0_17
; %bb.16:
	v_add_u32_e32 v0, 0x280, v66
	ds_read2_b32 v[38:39], v0 offset0:29 offset1:245
	v_add_u32_e32 v0, 0x980, v66
	ds_read2_b32 v[40:41], v0 offset0:13 offset1:229
	;; [unrolled: 2-line block ×3, first 2 shown]
	ds_read_b32 v30, v66 offset:5940
	s_or_b64 exec, exec, s[6:7]
	s_and_saveexec_b64 s[6:7], s[0:1]
	s_cbranch_execz .LBB0_20
	s_branch .LBB0_18
.LBB0_17:
	s_or_b64 exec, exec, s[6:7]
	s_and_saveexec_b64 s[6:7], s[0:1]
	s_cbranch_execz .LBB0_20
.LBB0_18:
	v_mul_u32_u24_e32 v0, 6, v25
	v_lshlrev_b32_e32 v12, 3, v0
	global_load_dwordx4 v[0:3], v12, s[4:5] offset:1728
	global_load_dwordx4 v[4:7], v12, s[4:5] offset:1712
	;; [unrolled: 1-line block ×3, first 2 shown]
	v_mul_u32_u24_e32 v12, 6, v24
	v_lshlrev_b32_e32 v12, 3, v12
	global_load_dwordx4 v[100:103], v12, s[4:5] offset:1728
	global_load_dwordx4 v[104:107], v12, s[4:5] offset:1712
	;; [unrolled: 1-line block ×3, first 2 shown]
	v_mov_b32_e32 v12, 0xfffffe86
	v_mov_b32_e32 v71, 0
	v_mad_u32_u24 v70, v25, 6, v12
	v_lshl_add_u64 v[84:85], v[70:71], 3, s[4:5]
	global_load_dwordx4 v[12:15], v[84:85], off offset:1728
	global_load_dwordx4 v[16:19], v[84:85], off offset:1712
	;; [unrolled: 1-line block ×3, first 2 shown]
	v_mov_b32_e32 v25, v71
	v_lshl_add_u64 v[26:27], v[24:25], 3, v[26:27]
	v_mov_b32_e32 v114, v83
	v_mov_b32_e32 v115, v58
	s_waitcnt lgkmcnt(10)
	v_mov_b32_e32 v113, v72
	s_mov_b32 s6, 0xbeae86e6
	s_mov_b32 s10, 0x3f4a47b2
	v_mov_b32_e32 v112, v56
	s_mov_b32 s7, 0x3f08b237
	s_mov_b32 s11, 0x3d64c772
	;; [unrolled: 1-line block ×10, first 2 shown]
	s_mov_b64 s[20:21], 0x3f0
	s_waitcnt vmcnt(8)
	v_mul_f32_e32 v86, v51, v0
	s_waitcnt vmcnt(7) lgkmcnt(8)
	v_mul_f32_e32 v25, v92, v7
	s_waitcnt vmcnt(6) lgkmcnt(1)
	v_mul_f32_e32 v33, v97, v9
	v_mul_f32_e32 v9, v81, v9
	;; [unrolled: 1-line block ×3, first 2 shown]
	s_waitcnt vmcnt(5)
	v_mul_f32_e32 v120, v83, v100
	s_waitcnt vmcnt(3)
	v_mul_f32_e32 v58, v58, v111
	v_mul_f32_e32 v83, v43, v105
	v_fmac_f32_e32 v25, v82, v6
	v_fmac_f32_e32 v33, v81, v8
	v_fma_f32 v85, v97, v8, -v9
	v_fma_f32 v87, v92, v6, -v66
	s_waitcnt vmcnt(1)
	v_mul_f32_e32 v6, v95, v19
	s_waitcnt vmcnt(0)
	v_mul_f32_e32 v8, v96, v21
	v_mul_f32_e32 v116, v54, v102
	;; [unrolled: 1-line block ×5, first 2 shown]
	v_mov_b32_e32 v124, v101
	v_mov_b32_e32 v125, v110
	v_fma_f32 v119, v78, v110, -v58
	v_mul_f32_e32 v21, v80, v21
	v_mul_f32_e32 v19, v77, v19
	v_fma_f32 v117, v63, v104, -v83
	v_fmac_f32_e32 v6, v77, v18
	v_fmac_f32_e32 v8, v80, v20
	v_mov_b32_e32 v7, v111
	v_fmac_f32_e32 v70, v76, v106
	v_fma_f32 v121, v94, v106, -v107
	v_sub_f32_e32 v9, v25, v33
	v_fma_f32 v131, v96, v20, -v21
	v_fma_f32 v129, v95, v18, -v19
	v_sub_f32_e32 v96, v117, v119
	v_pk_add_f32 v[106:107], v[116:117], v[118:119]
	v_sub_f32_e32 v19, v6, v8
	v_add_f32_e32 v20, v6, v8
	v_pk_mul_f32 v[114:115], v[114:115], v[124:125]
	v_mov_b32_e32 v8, v93
	v_mov_b32_e32 v116, v93
	;; [unrolled: 1-line block ×4, first 2 shown]
	v_mul_f32_e32 v122, v93, v101
	v_pk_fma_f32 v[100:101], v[8:9], v[100:101], v[114:115] neg_lo:[0,0,1] neg_hi:[0,0,1]
	v_pk_fma_f32 v[6:7], v[116:117], v[6:7], v[114:115]
	v_mov_b32_e32 v115, v105
	v_mov_b32_e32 v116, v54
	;; [unrolled: 1-line block ×9, first 2 shown]
	v_pk_mul_f32 v[104:105], v[116:117], v[104:105]
	v_mul_f32_e32 v99, v45, v109
	v_pk_fma_f32 v[102:103], v[74:75], v[102:103], v[104:105] neg_lo:[0,0,1] neg_hi:[0,0,1]
	v_pk_fma_f32 v[6:7], v[6:7], v[114:115], v[104:105]
	v_mul_f32_e32 v72, v61, v109
	v_fma_f32 v123, v61, v108, -v99
	v_mov_b32_e32 v103, v7
	v_fmac_f32_e32 v72, v45, v108
	v_pk_add_f32 v[108:109], v[120:121], v[122:123]
	v_pk_add_f32 v[6:7], v[102:103], v[100:101]
	v_add_f32_e32 v92, v70, v72
	v_mov_b32_e32 v114, v121
	v_mov_b32_e32 v115, v106
	;; [unrolled: 1-line block ×7, first 2 shown]
	v_pk_add_f32 v[110:111], v[106:107], v[108:109]
	v_pk_add_f32 v[104:105], v[102:103], v[100:101] neg_lo:[0,1] neg_hi:[0,1]
	v_pk_add_f32 v[114:115], v[114:115], v[116:117] neg_lo:[0,1] neg_hi:[0,1]
	v_pk_add_f32 v[100:101], v[120:121], v[92:93]
	v_sub_f32_e32 v95, v70, v72
	v_mov_b32_e32 v97, v115
	v_mov_b32_e32 v94, v104
	v_pk_add_f32 v[102:103], v[100:101], v[110:111]
	v_mov_b32_e32 v100, v7
	v_mov_b32_e32 v111, v109
	v_pk_add_f32 v[116:117], v[96:97], v[94:95] neg_lo:[0,1] neg_hi:[0,1]
	v_mov_b32_e32 v118, v104
	v_mov_b32_e32 v119, v115
	;; [unrolled: 1-line block ×3, first 2 shown]
	v_pk_add_f32 v[120:121], v[100:101], v[110:111] neg_lo:[0,1] neg_hi:[0,1]
	v_mov_b32_e32 v111, v107
	v_mov_b32_e32 v93, v101
	v_pk_mul_f32 v[116:117], v[116:117], s[6:7]
	v_pk_add_f32 v[118:119], v[118:119], v[94:95]
	v_mov_b32_e32 v97, v105
	v_pk_add_f32 v[104:105], v[104:105], v[114:115] neg_lo:[0,1] neg_hi:[0,1]
	v_pk_add_f32 v[112:113], v[112:113], v[102:103]
	v_pk_mul_f32 v[120:121], v[120:121], s[10:11]
	v_pk_add_f32 v[100:101], v[110:111], v[92:93] neg_lo:[0,1] neg_hi:[0,1]
	v_pk_add_f32 v[118:119], v[96:97], v[118:119]
	v_pk_mul_f32 v[114:115], v[104:105], s[8:9]
	v_pk_fma_f32 v[104:105], v[104:105], s[8:9], v[116:117]
	v_pk_mul_f32 v[110:111], v[100:101], s[16:17]
	v_pk_fma_f32 v[100:101], v[100:101], s[16:17], v[120:121]
	v_pk_fma_f32 v[102:103], v[102:103], s[18:19], v[112:113] op_sel_hi:[1,0,1] neg_lo:[1,0,0] neg_hi:[1,0,0]
	v_mov_b32_e32 v93, v109
	v_mov_b32_e32 v106, v7
	v_pk_fma_f32 v[104:105], v[118:119], s[0:1], v[104:105] op_sel_hi:[1,0,1]
	v_pk_add_f32 v[100:101], v[100:101], v[102:103]
	v_pk_add_f32 v[6:7], v[92:93], v[106:107] neg_lo:[0,1] neg_hi:[0,1]
	v_pk_add_f32 v[92:93], v[94:95], v[96:97] neg_lo:[0,1] neg_hi:[0,1]
	v_mov_b32_e32 v94, v116
	v_mov_b32_e32 v95, v115
	;; [unrolled: 1-line block ×4, first 2 shown]
	v_pk_add_f32 v[122:123], v[100:101], v[104:105]
	v_pk_add_f32 v[100:101], v[100:101], v[104:105] neg_lo:[0,1] neg_hi:[0,1]
	v_pk_fma_f32 v[94:95], v[92:93], s[14:15], v[94:95] op_sel_hi:[1,0,1] neg_lo:[1,0,1] neg_hi:[1,0,1]
	v_pk_fma_f32 v[96:97], v[6:7], s[12:13], v[96:97] op_sel_hi:[1,0,1] neg_lo:[1,0,1] neg_hi:[1,0,1]
	v_mov_b32_e32 v104, v122
	v_mov_b32_e32 v105, v101
	v_pk_fma_f32 v[94:95], v[118:119], s[0:1], v[94:95] op_sel_hi:[1,0,1]
	v_pk_add_f32 v[96:97], v[96:97], v[102:103]
	v_mov_b32_e32 v115, v117
	v_mov_b32_e32 v111, v121
	global_store_dwordx2 v[26:27], v[104:105], off offset:1728
	v_pk_add_f32 v[104:105], v[96:97], v[94:95]
	v_pk_add_f32 v[94:95], v[96:97], v[94:95] neg_lo:[0,1] neg_hi:[0,1]
	v_pk_fma_f32 v[92:93], v[92:93], s[14:15], v[114:115] op_sel_hi:[1,0,1] neg_lo:[0,0,1] neg_hi:[0,0,1]
	v_pk_fma_f32 v[6:7], v[6:7], s[12:13], v[110:111] op_sel_hi:[1,0,1] neg_lo:[0,0,1] neg_hi:[0,0,1]
	v_mov_b32_e32 v96, v104
	v_mov_b32_e32 v97, v95
	v_pk_fma_f32 v[92:93], v[118:119], s[0:1], v[92:93] op_sel_hi:[1,0,1]
	v_pk_add_f32 v[6:7], v[6:7], v[102:103]
	s_movk_i32 s1, 0x1000
	global_store_dwordx2 v[26:27], v[96:97], off offset:3456
	v_pk_add_f32 v[96:97], v[6:7], v[92:93] neg_lo:[0,1] neg_hi:[0,1]
	v_pk_add_f32 v[92:93], v[6:7], v[92:93]
	v_add_co_u32_e32 v6, vcc, s1, v26
	v_mov_b32_e32 v103, v93
	s_nop 0
	v_addc_co_u32_e32 v7, vcc, 0, v27, vcc
	v_mov_b32_e32 v93, v97
	s_movk_i32 s13, 0x2000
	v_mul_f32_e32 v36, v53, v11
	v_mov_b32_e32 v102, v96
	global_store_dwordx2 v[6:7], v[92:93], off offset:2816
	v_add_co_u32_e32 v92, vcc, s13, v26
	s_waitcnt lgkmcnt(0)
	v_fma_f32 v91, v67, v10, -v36
	v_mul_f32_e32 v36, v59, v23
	global_store_dwordx2 v[6:7], v[102:103], off offset:1088
	v_addc_co_u32_e32 v93, vcc, 0, v27, vcc
	v_mov_b32_e32 v101, v123
	v_mov_b32_e32 v58, v50
	;; [unrolled: 1-line block ×4, first 2 shown]
	v_fma_f32 v127, v79, v22, -v36
	global_store_dwordx2 v[92:93], v[100:101], off offset:2176
	v_mov_b32_e32 v78, v68
	v_mov_b32_e32 v100, v12
	;; [unrolled: 1-line block ×3, first 2 shown]
	v_pk_mul_f32 v[22:23], v[58:59], v[102:103]
	v_mul_f32_e32 v128, v50, v12
	v_mul_f32_e32 v130, v68, v13
	v_pk_fma_f32 v[12:13], v[68:69], v[12:13], v[22:23] neg_lo:[0,0,1] neg_hi:[0,0,1]
	v_pk_fma_f32 v[22:23], v[78:79], v[100:101], v[22:23]
	v_mul_f32_e32 v82, v55, v14
	v_mul_f32_e32 v126, v75, v15
	;; [unrolled: 1-line block ×3, first 2 shown]
	v_mov_b32_e32 v8, v75
	v_mov_b32_e32 v22, v75
	;; [unrolled: 1-line block ×6, first 2 shown]
	v_fma_f32 v83, v64, v16, -v45
	v_mov_b32_e32 v13, v23
	v_mov_b32_e32 v23, v64
	;; [unrolled: 1-line block ×4, first 2 shown]
	v_pk_mul_f32 v[16:17], v[54:55], v[74:75]
	v_mov_b32_e32 v95, v105
	v_pk_fma_f32 v[14:15], v[8:9], v[14:15], v[16:17] neg_lo:[0,0,1] neg_hi:[0,0,1]
	v_pk_fma_f32 v[16:17], v[22:23], v[58:59], v[16:17]
	v_sub_f32_e32 v80, v83, v127
	v_mov_b32_e32 v15, v17
	global_store_dwordx2 v[92:93], v[94:95], off offset:448
	v_pk_add_f32 v[82:83], v[82:83], v[126:127]
	v_pk_add_f32 v[94:95], v[128:129], v[130:131]
	;; [unrolled: 1-line block ×3, first 2 shown]
	v_mov_b32_e32 v54, v129
	v_mov_b32_e32 v55, v82
	;; [unrolled: 1-line block ×7, first 2 shown]
	v_pk_add_f32 v[96:97], v[82:83], v[94:95]
	v_pk_add_f32 v[22:23], v[14:15], v[12:13] neg_lo:[0,1] neg_hi:[0,1]
	v_pk_add_f32 v[54:55], v[54:55], v[58:59] neg_lo:[0,1] neg_hi:[0,1]
	v_pk_add_f32 v[12:13], v[78:79], v[20:21]
	v_mov_b32_e32 v81, v55
	v_mov_b32_e32 v18, v22
	v_pk_add_f32 v[14:15], v[12:13], v[96:97]
	v_mov_b32_e32 v12, v17
	v_mov_b32_e32 v97, v95
	;; [unrolled: 1-line block ×3, first 2 shown]
	v_pk_add_f32 v[58:59], v[80:81], v[18:19] neg_lo:[0,1] neg_hi:[0,1]
	v_mov_b32_e32 v74, v22
	v_mov_b32_e32 v75, v55
	;; [unrolled: 1-line block ×3, first 2 shown]
	v_pk_add_f32 v[78:79], v[12:13], v[96:97] neg_lo:[0,1] neg_hi:[0,1]
	v_mov_b32_e32 v97, v83
	v_mov_b32_e32 v21, v13
	v_pk_mul_f32 v[58:59], v[58:59], s[6:7]
	v_pk_add_f32 v[74:75], v[74:75], v[18:19]
	v_mov_b32_e32 v81, v23
	v_pk_add_f32 v[22:23], v[22:23], v[54:55] neg_lo:[0,1] neg_hi:[0,1]
	v_pk_add_f32 v[72:73], v[72:73], v[14:15]
	v_pk_mul_f32 v[78:79], v[78:79], s[10:11]
	v_pk_add_f32 v[12:13], v[96:97], v[20:21] neg_lo:[0,1] neg_hi:[0,1]
	v_pk_add_f32 v[74:75], v[80:81], v[74:75]
	v_pk_mul_f32 v[54:55], v[22:23], s[8:9]
	v_pk_fma_f32 v[22:23], v[22:23], s[8:9], v[58:59]
	v_pk_mul_f32 v[96:97], v[12:13], s[16:17]
	v_pk_fma_f32 v[12:13], v[12:13], s[16:17], v[78:79]
	v_pk_fma_f32 v[14:15], v[14:15], s[18:19], v[72:73] op_sel_hi:[1,0,1] neg_lo:[1,0,0] neg_hi:[1,0,0]
	v_pk_fma_f32 v[22:23], v[74:75], s[0:1], v[22:23] op_sel_hi:[1,0,1]
	v_pk_add_f32 v[12:13], v[12:13], v[14:15]
	v_mov_b32_e32 v21, v95
	v_pk_add_f32 v[100:101], v[12:13], v[22:23]
	v_pk_add_f32 v[12:13], v[12:13], v[22:23] neg_lo:[0,1] neg_hi:[0,1]
	v_mov_b32_e32 v22, v100
	v_mov_b32_e32 v23, v13
	;; [unrolled: 1-line block ×3, first 2 shown]
	global_store_dwordx2 v[26:27], v[22:23], off offset:2232
	v_pk_add_f32 v[16:17], v[20:21], v[82:83] neg_lo:[0,1] neg_hi:[0,1]
	v_pk_add_f32 v[18:19], v[18:19], v[80:81] neg_lo:[0,1] neg_hi:[0,1]
	v_mov_b32_e32 v20, v58
	v_mov_b32_e32 v21, v55
	;; [unrolled: 1-line block ×4, first 2 shown]
	v_pk_fma_f32 v[20:21], v[18:19], s[14:15], v[20:21] op_sel_hi:[1,0,1] neg_lo:[1,0,1] neg_hi:[1,0,1]
	v_pk_fma_f32 v[22:23], v[16:17], s[12:13], v[22:23] op_sel_hi:[1,0,1] neg_lo:[1,0,1] neg_hi:[1,0,1]
	v_pk_fma_f32 v[20:21], v[74:75], s[0:1], v[20:21] op_sel_hi:[1,0,1]
	v_pk_add_f32 v[22:23], v[22:23], v[14:15]
	v_mov_b32_e32 v97, v79
	global_store_dwordx2 v[26:27], v[72:73], off offset:504
	v_pk_add_f32 v[72:73], v[22:23], v[20:21]
	v_pk_add_f32 v[20:21], v[22:23], v[20:21] neg_lo:[0,1] neg_hi:[0,1]
	v_pk_fma_f32 v[16:17], v[16:17], s[12:13], v[96:97] op_sel_hi:[1,0,1] neg_lo:[0,0,1] neg_hi:[0,0,1]
	s_mov_b32 s13, 0x97b425f
	v_mov_b32_e32 v22, v72
	v_mov_b32_e32 v23, v21
	v_mul_hi_u32 v8, v52, s13
	v_mov_b32_e32 v52, v51
	v_mov_b32_e32 v50, v1
	;; [unrolled: 1-line block ×3, first 2 shown]
	global_store_dwordx2 v[26:27], v[22:23], off offset:3960
	v_mov_b32_e32 v55, v59
	v_mul_u32_u24_e32 v70, 0x510, v8
	v_mov_b32_e32 v8, v69
	v_mov_b32_e32 v66, v69
	;; [unrolled: 1-line block ×4, first 2 shown]
	v_pk_mul_f32 v[10:11], v[52:53], v[50:51]
	v_mul_f32_e32 v84, v69, v1
	v_mul_f32_e32 v56, v47, v5
	v_pk_fma_f32 v[18:19], v[18:19], s[14:15], v[54:55] op_sel_hi:[1,0,1] neg_lo:[0,0,1] neg_hi:[0,0,1]
	v_pk_fma_f32 v[0:1], v[8:9], v[0:1], v[10:11] neg_lo:[0,0,1] neg_hi:[0,0,1]
	v_pk_fma_f32 v[10:11], v[66:67], v[22:23], v[10:11]
	v_mov_b32_e32 v45, v47
	v_mov_b32_e32 v22, v3
	;; [unrolled: 1-line block ×3, first 2 shown]
	v_fma_f32 v89, v65, v4, -v56
	v_pk_fma_f32 v[18:19], v[74:75], s[0:1], v[18:19] op_sel_hi:[1,0,1]
	v_pk_add_f32 v[14:15], v[16:17], v[14:15]
	v_mov_b32_e32 v1, v11
	v_mov_b32_e32 v61, v65
	;; [unrolled: 1-line block ×4, first 2 shown]
	v_pk_mul_f32 v[4:5], v[44:45], v[22:23]
	v_mul_f32_e32 v88, v44, v2
	v_mul_f32_e32 v90, v60, v3
	v_pk_add_f32 v[16:17], v[14:15], v[18:19] neg_lo:[0,1] neg_hi:[0,1]
	v_pk_add_f32 v[14:15], v[14:15], v[18:19]
	v_pk_fma_f32 v[2:3], v[60:61], v[2:3], v[4:5] neg_lo:[0,0,1] neg_hi:[0,0,1]
	v_pk_fma_f32 v[4:5], v[60:61], v[10:11], v[4:5]
	v_mov_b32_e32 v18, v16
	v_mov_b32_e32 v19, v15
	;; [unrolled: 1-line block ×3, first 2 shown]
	global_store_dwordx2 v[6:7], v[18:19], off offset:1592
	v_mov_b32_e32 v15, v17
	v_pk_add_f32 v[16:17], v[88:89], v[90:91]
	v_pk_add_f32 v[18:19], v[86:87], v[84:85]
	;; [unrolled: 1-line block ×3, first 2 shown]
	v_add_f32_e32 v56, v25, v33
	v_mov_b32_e32 v21, v73
	v_mov_b32_e32 v22, v87
	;; [unrolled: 1-line block ×8, first 2 shown]
	global_store_dwordx2 v[92:93], v[20:21], off offset:952
	v_pk_add_f32 v[20:21], v[16:17], v[18:19]
	v_pk_add_f32 v[10:11], v[2:3], v[0:1] neg_lo:[0,1] neg_hi:[0,1]
	v_pk_add_f32 v[22:23], v[22:23], v[44:45] neg_lo:[0,1] neg_hi:[0,1]
	v_pk_add_f32 v[0:1], v[50:51], v[56:57]
	v_sub_f32_e32 v76, v89, v91
	v_mov_b32_e32 v77, v23
	v_mov_b32_e32 v8, v10
	v_pk_add_f32 v[2:3], v[0:1], v[20:21]
	v_mov_b32_e32 v0, v5
	v_mov_b32_e32 v21, v19
	;; [unrolled: 1-line block ×3, first 2 shown]
	v_pk_add_f32 v[44:45], v[76:77], v[8:9] neg_lo:[0,1] neg_hi:[0,1]
	v_mov_b32_e32 v46, v10
	v_mov_b32_e32 v47, v23
	v_mov_b32_e32 v8, v22
	v_pk_add_f32 v[50:51], v[0:1], v[20:21] neg_lo:[0,1] neg_hi:[0,1]
	v_mov_b32_e32 v21, v17
	v_mov_b32_e32 v57, v1
	v_pk_mul_f32 v[44:45], v[44:45], s[6:7]
	v_pk_add_f32 v[46:47], v[46:47], v[8:9]
	v_mov_b32_e32 v77, v11
	v_pk_add_f32 v[10:11], v[10:11], v[22:23] neg_lo:[0,1] neg_hi:[0,1]
	v_pk_add_f32 v[42:43], v[42:43], v[2:3]
	v_pk_mul_f32 v[50:51], v[50:51], s[10:11]
	v_pk_add_f32 v[0:1], v[20:21], v[56:57] neg_lo:[0,1] neg_hi:[0,1]
	v_pk_add_f32 v[46:47], v[76:77], v[46:47]
	v_pk_mul_f32 v[22:23], v[10:11], s[8:9]
	v_pk_fma_f32 v[10:11], v[10:11], s[8:9], v[44:45]
	v_pk_mul_f32 v[20:21], v[0:1], s[16:17]
	v_pk_fma_f32 v[0:1], v[0:1], s[16:17], v[50:51]
	v_pk_fma_f32 v[2:3], v[2:3], s[18:19], v[42:43] op_sel_hi:[1,0,1] neg_lo:[1,0,0] neg_hi:[1,0,0]
	v_pk_fma_f32 v[10:11], v[46:47], s[0:1], v[10:11] op_sel_hi:[1,0,1]
	v_pk_add_f32 v[0:1], v[0:1], v[2:3]
	v_mov_b32_e32 v13, v101
	v_pk_add_f32 v[52:53], v[0:1], v[10:11]
	v_pk_add_f32 v[0:1], v[0:1], v[10:11] neg_lo:[0,1] neg_hi:[0,1]
	global_store_dwordx2 v[92:93], v[12:13], off offset:2680
	v_lshl_add_u64 v[12:13], v[70:71], 3, v[26:27]
	v_mov_b32_e32 v10, v52
	v_mov_b32_e32 v11, v1
	;; [unrolled: 1-line block ×4, first 2 shown]
	global_store_dwordx2 v[6:7], v[14:15], off offset:3320
	global_store_dwordx2 v[12:13], v[10:11], off offset:2736
	v_pk_add_f32 v[4:5], v[56:57], v[16:17] neg_lo:[0,1] neg_hi:[0,1]
	v_pk_add_f32 v[8:9], v[8:9], v[76:77] neg_lo:[0,1] neg_hi:[0,1]
	v_mov_b32_e32 v10, v44
	v_mov_b32_e32 v11, v23
	;; [unrolled: 1-line block ×4, first 2 shown]
	v_pk_fma_f32 v[10:11], v[8:9], s[14:15], v[10:11] op_sel_hi:[1,0,1] neg_lo:[1,0,1] neg_hi:[1,0,1]
	v_pk_fma_f32 v[16:17], v[4:5], s[12:13], v[16:17] op_sel_hi:[1,0,1] neg_lo:[1,0,1] neg_hi:[1,0,1]
	v_pk_fma_f32 v[10:11], v[46:47], s[0:1], v[10:11] op_sel_hi:[1,0,1]
	v_pk_add_f32 v[16:17], v[16:17], v[2:3]
	v_mov_b32_e32 v23, v45
	v_mov_b32_e32 v21, v51
	v_pk_add_f32 v[18:19], v[16:17], v[10:11]
	v_pk_add_f32 v[10:11], v[16:17], v[10:11] neg_lo:[0,1] neg_hi:[0,1]
	v_pk_fma_f32 v[8:9], v[8:9], s[14:15], v[22:23] op_sel_hi:[1,0,1] neg_lo:[0,0,1] neg_hi:[0,0,1]
	v_pk_fma_f32 v[4:5], v[4:5], s[12:13], v[20:21] op_sel_hi:[1,0,1] neg_lo:[0,0,1] neg_hi:[0,0,1]
	v_lshl_add_u64 v[14:15], v[12:13], 0, s[20:21]
	v_mov_b32_e32 v16, v18
	v_mov_b32_e32 v17, v11
	v_pk_fma_f32 v[8:9], v[46:47], s[0:1], v[8:9] op_sel_hi:[1,0,1]
	v_pk_add_f32 v[2:3], v[4:5], v[2:3]
	global_store_dwordx2 v[14:15], v[16:17], off offset:3456
	v_pk_add_f32 v[4:5], v[2:3], v[8:9] neg_lo:[0,1] neg_hi:[0,1]
	v_pk_add_f32 v[2:3], v[2:3], v[8:9]
	v_add_co_u32_e32 v14, vcc, s1, v12
	v_mov_b32_e32 v9, v3
	s_nop 0
	v_addc_co_u32_e32 v15, vcc, 0, v13, vcc
	v_mov_b32_e32 v3, v5
	global_store_dwordx2 v[14:15], v[2:3], off offset:3824
	v_add_co_u32_e32 v2, vcc, 0x2000, v12
	v_mov_b32_e32 v8, v4
	v_mov_b32_e32 v11, v19
	v_addc_co_u32_e32 v3, vcc, 0, v13, vcc
	v_mov_b32_e32 v1, v53
	global_store_dwordx2 v[26:27], v[112:113], off
	global_store_dwordx2 v[12:13], v[42:43], off offset:1008
	global_store_dwordx2 v[14:15], v[8:9], off offset:2096
	;; [unrolled: 1-line block ×4, first 2 shown]
	s_and_b64 exec, exec, s[2:3]
	s_cbranch_execz .LBB0_20
; %bb.19:
	v_subrev_u32_e32 v0, 27, v24
	v_cndmask_b32_e64 v0, v0, v98, s[2:3]
	v_mul_i32_i24_e32 v70, 6, v0
	v_lshl_add_u64 v[4:5], v[70:71], 3, s[4:5]
	global_load_dwordx4 v[0:3], v[4:5], off offset:1728
	global_load_dwordx4 v[8:11], v[4:5], off offset:1712
	;; [unrolled: 1-line block ×3, first 2 shown]
	v_mov_b32_e32 v16, v31
	v_mov_b32_e32 v22, v35
	;; [unrolled: 1-line block ×6, first 2 shown]
	s_mov_b32 s2, 0xbf955555
	s_waitcnt vmcnt(2)
	v_mul_f32_e32 v42, v34, v2
	s_waitcnt vmcnt(1)
	v_pk_mul_f32 v[16:17], v[16:17], v[8:9] op_sel_hi:[0,1]
	v_pk_mul_f32 v[28:29], v[28:29], v[10:11] op_sel:[1,0]
	s_waitcnt vmcnt(0)
	v_pk_mul_f32 v[22:23], v[22:23], v[12:13] op_sel_hi:[0,1]
	v_pk_mul_f32 v[32:33], v[32:33], v[14:15] op_sel_hi:[0,1]
	v_mul_f32_e32 v44, v48, v3
	v_mul_f32_e32 v3, v34, v3
	v_pk_fma_f32 v[34:35], v[38:39], v[8:9], v[16:17] op_sel:[1,0,1] op_sel_hi:[1,1,0] neg_lo:[0,0,1] neg_hi:[0,0,1]
	v_pk_fma_f32 v[8:9], v[38:39], v[8:9], v[16:17] op_sel:[1,0,1] op_sel_hi:[1,1,0]
	v_pk_fma_f32 v[16:17], v[40:41], v[10:11], v[28:29] op_sel:[0,0,1] op_sel_hi:[1,1,0] neg_lo:[0,0,1] neg_hi:[0,0,1]
	v_pk_fma_f32 v[10:11], v[40:41], v[10:11], v[28:29] op_sel:[0,0,1] op_sel_hi:[0,1,0]
	v_pk_fma_f32 v[18:19], v[18:19], v[12:13], v[22:23] op_sel:[0,0,1] op_sel_hi:[1,1,0] neg_lo:[0,0,1] neg_hi:[0,0,1]
	v_pk_fma_f32 v[12:13], v[20:21], v[12:13], v[22:23] op_sel:[0,0,1] op_sel_hi:[0,1,0]
	v_pk_fma_f32 v[20:21], v[30:31], v[14:15], v[32:33] op_sel:[0,0,1] op_sel_hi:[1,1,0] neg_lo:[0,0,1] neg_hi:[0,0,1]
	v_pk_fma_f32 v[14:15], v[30:31], v[14:15], v[32:33] op_sel:[0,0,1] op_sel_hi:[0,1,0]
	v_mul_f32_e32 v24, v37, v0
	v_mul_f32_e32 v36, v41, v1
	;; [unrolled: 1-line block ×3, first 2 shown]
	v_mov_b32_e32 v35, v9
	v_mov_b32_e32 v17, v11
	;; [unrolled: 1-line block ×8, first 2 shown]
	v_fma_f32 v0, v41, v0, -v1
	v_fma_f32 v2, v48, v2, -v3
	v_pk_add_f32 v[12:13], v[34:35], v[20:21]
	v_pk_add_f32 v[14:15], v[34:35], v[20:21] neg_lo:[0,1] neg_hi:[0,1]
	v_pk_add_f32 v[20:21], v[16:17], v[18:19]
	v_pk_add_f32 v[16:17], v[16:17], v[18:19] neg_lo:[0,1] neg_hi:[0,1]
	v_pk_add_f32 v[18:19], v[42:43], v[44:45]
	v_pk_add_f32 v[22:23], v[24:25], v[36:37]
	v_mov_b32_e32 v9, v0
	v_mov_b32_e32 v11, v2
	;; [unrolled: 1-line block ×6, first 2 shown]
	v_pk_add_f32 v[24:25], v[22:23], v[18:19]
	v_pk_add_f32 v[0:1], v[2:3], v[0:1] neg_lo:[0,1] neg_hi:[0,1]
	v_pk_add_f32 v[2:3], v[8:9], v[10:11]
	v_mov_b32_e32 v28, v21
	v_mov_b32_e32 v30, v13
	;; [unrolled: 1-line block ×9, first 2 shown]
	v_pk_add_f32 v[8:9], v[0:1], v[16:17]
	v_mov_b32_e32 v33, v1
	v_mov_b32_e32 v34, v0
	;; [unrolled: 1-line block ×4, first 2 shown]
	v_pk_add_f32 v[38:39], v[16:17], v[14:15] neg_lo:[0,1] neg_hi:[0,1]
	v_pk_add_f32 v[2:3], v[2:3], v[24:25]
	v_pk_add_f32 v[10:11], v[18:19], v[28:29] neg_lo:[0,1] neg_hi:[0,1]
	v_pk_add_f32 v[16:17], v[30:31], v[22:23] neg_lo:[0,1] neg_hi:[0,1]
	;; [unrolled: 1-line block ×4, first 2 shown]
	v_pk_add_f32 v[8:9], v[8:9], v[14:15]
	v_pk_add_f32 v[4:5], v[4:5], v[2:3]
	v_mov_b32_e32 v22, v21
	v_mov_b32_e32 v18, v13
	v_pk_mul_f32 v[10:11], v[10:11], s[16:17]
	v_pk_mul_f32 v[12:13], v[16:17], s[10:11]
	v_pk_mul_f32 v[14:15], v[24:25], s[6:7]
	v_pk_mul_f32 v[0:1], v[0:1], s[8:9]
	v_pk_fma_f32 v[2:3], v[2:3], s[2:3], v[4:5] op_sel_hi:[1,0,1]
	v_pk_add_f32 v[18:19], v[22:23], v[18:19] neg_lo:[0,1] neg_hi:[0,1]
	v_pk_fma_f32 v[16:17], v[16:17], s[10:11], v[10:11]
	v_pk_fma_f32 v[20:21], v[24:25], s[6:7], v[0:1]
	v_mov_b32_e32 v22, v12
	v_mov_b32_e32 v23, v11
	;; [unrolled: 1-line block ×6, first 2 shown]
	v_pk_add_f32 v[16:17], v[16:17], v[2:3]
	v_pk_fma_f32 v[20:21], v[8:9], s[0:1], v[20:21] op_sel_hi:[1,0,1]
	v_pk_fma_f32 v[22:23], v[18:19], s[12:13], v[22:23] op_sel_hi:[1,0,1] neg_lo:[1,0,1] neg_hi:[1,0,1]
	v_pk_fma_f32 v[24:25], v[38:39], s[14:15], v[24:25] op_sel_hi:[1,0,1] neg_lo:[1,0,1] neg_hi:[1,0,1]
	;; [unrolled: 1-line block ×4, first 2 shown]
	v_pk_add_f32 v[22:23], v[22:23], v[2:3]
	v_pk_add_f32 v[2:3], v[10:11], v[2:3]
	v_pk_fma_f32 v[0:1], v[8:9], s[0:1], v[0:1] op_sel_hi:[1,0,1]
	v_pk_fma_f32 v[8:9], v[8:9], s[0:1], v[24:25] op_sel_hi:[1,0,1]
	v_pk_add_f32 v[10:11], v[16:17], v[20:21]
	v_pk_add_f32 v[12:13], v[16:17], v[20:21] neg_lo:[0,1] neg_hi:[0,1]
	v_pk_add_f32 v[14:15], v[22:23], v[8:9]
	v_pk_add_f32 v[8:9], v[22:23], v[8:9] neg_lo:[0,1] neg_hi:[0,1]
	v_pk_add_f32 v[16:17], v[2:3], v[0:1] neg_lo:[0,1] neg_hi:[0,1]
	v_pk_add_f32 v[0:1], v[2:3], v[0:1]
	v_mov_b32_e32 v2, v10
	v_mov_b32_e32 v3, v13
	global_store_dwordx2 v[26:27], v[2:3], off offset:3240
	v_mov_b32_e32 v2, v14
	v_mov_b32_e32 v3, v9
	global_store_dwordx2 v[6:7], v[2:3], off offset:872
	;; [unrolled: 3-line block ×3, first 2 shown]
	v_add_co_u32_e32 v2, vcc, 0x2000, v26
	v_mov_b32_e32 v1, v17
	s_nop 0
	v_addc_co_u32_e32 v3, vcc, 0, v27, vcc
	v_mov_b32_e32 v9, v15
	v_mov_b32_e32 v13, v11
	global_store_dwordx2 v[26:27], v[4:5], off offset:1512
	global_store_dwordx2 v[2:3], v[0:1], off offset:232
	;; [unrolled: 1-line block ×4, first 2 shown]
	s_endpgm
.LBB0_20:
	s_endpgm
	.section	.rodata,"a",@progbits
	.p2align	6, 0x0
	.amdhsa_kernel fft_rtc_back_len1512_factors_2_2_2_3_3_3_7_wgs_63_tpt_63_halfLds_sp_ip_CI_unitstride_sbrr_dirReg
		.amdhsa_group_segment_fixed_size 0
		.amdhsa_private_segment_fixed_size 0
		.amdhsa_kernarg_size 88
		.amdhsa_user_sgpr_count 2
		.amdhsa_user_sgpr_dispatch_ptr 0
		.amdhsa_user_sgpr_queue_ptr 0
		.amdhsa_user_sgpr_kernarg_segment_ptr 1
		.amdhsa_user_sgpr_dispatch_id 0
		.amdhsa_user_sgpr_kernarg_preload_length 0
		.amdhsa_user_sgpr_kernarg_preload_offset 0
		.amdhsa_user_sgpr_private_segment_size 0
		.amdhsa_uses_dynamic_stack 0
		.amdhsa_enable_private_segment 0
		.amdhsa_system_sgpr_workgroup_id_x 1
		.amdhsa_system_sgpr_workgroup_id_y 0
		.amdhsa_system_sgpr_workgroup_id_z 0
		.amdhsa_system_sgpr_workgroup_info 0
		.amdhsa_system_vgpr_workitem_id 0
		.amdhsa_next_free_vgpr 132
		.amdhsa_next_free_sgpr 22
		.amdhsa_accum_offset 132
		.amdhsa_reserve_vcc 1
		.amdhsa_float_round_mode_32 0
		.amdhsa_float_round_mode_16_64 0
		.amdhsa_float_denorm_mode_32 3
		.amdhsa_float_denorm_mode_16_64 3
		.amdhsa_dx10_clamp 1
		.amdhsa_ieee_mode 1
		.amdhsa_fp16_overflow 0
		.amdhsa_tg_split 0
		.amdhsa_exception_fp_ieee_invalid_op 0
		.amdhsa_exception_fp_denorm_src 0
		.amdhsa_exception_fp_ieee_div_zero 0
		.amdhsa_exception_fp_ieee_overflow 0
		.amdhsa_exception_fp_ieee_underflow 0
		.amdhsa_exception_fp_ieee_inexact 0
		.amdhsa_exception_int_div_zero 0
	.end_amdhsa_kernel
	.text
.Lfunc_end0:
	.size	fft_rtc_back_len1512_factors_2_2_2_3_3_3_7_wgs_63_tpt_63_halfLds_sp_ip_CI_unitstride_sbrr_dirReg, .Lfunc_end0-fft_rtc_back_len1512_factors_2_2_2_3_3_3_7_wgs_63_tpt_63_halfLds_sp_ip_CI_unitstride_sbrr_dirReg
                                        ; -- End function
	.section	.AMDGPU.csdata,"",@progbits
; Kernel info:
; codeLenInByte = 14588
; NumSgprs: 28
; NumVgprs: 132
; NumAgprs: 0
; TotalNumVgprs: 132
; ScratchSize: 0
; MemoryBound: 0
; FloatMode: 240
; IeeeMode: 1
; LDSByteSize: 0 bytes/workgroup (compile time only)
; SGPRBlocks: 3
; VGPRBlocks: 16
; NumSGPRsForWavesPerEU: 28
; NumVGPRsForWavesPerEU: 132
; AccumOffset: 132
; Occupancy: 3
; WaveLimiterHint : 1
; COMPUTE_PGM_RSRC2:SCRATCH_EN: 0
; COMPUTE_PGM_RSRC2:USER_SGPR: 2
; COMPUTE_PGM_RSRC2:TRAP_HANDLER: 0
; COMPUTE_PGM_RSRC2:TGID_X_EN: 1
; COMPUTE_PGM_RSRC2:TGID_Y_EN: 0
; COMPUTE_PGM_RSRC2:TGID_Z_EN: 0
; COMPUTE_PGM_RSRC2:TIDIG_COMP_CNT: 0
; COMPUTE_PGM_RSRC3_GFX90A:ACCUM_OFFSET: 32
; COMPUTE_PGM_RSRC3_GFX90A:TG_SPLIT: 0
	.text
	.p2alignl 6, 3212836864
	.fill 256, 4, 3212836864
	.type	__hip_cuid_eea471ac386fc0df,@object ; @__hip_cuid_eea471ac386fc0df
	.section	.bss,"aw",@nobits
	.globl	__hip_cuid_eea471ac386fc0df
__hip_cuid_eea471ac386fc0df:
	.byte	0                               ; 0x0
	.size	__hip_cuid_eea471ac386fc0df, 1

	.ident	"AMD clang version 19.0.0git (https://github.com/RadeonOpenCompute/llvm-project roc-6.4.0 25133 c7fe45cf4b819c5991fe208aaa96edf142730f1d)"
	.section	".note.GNU-stack","",@progbits
	.addrsig
	.addrsig_sym __hip_cuid_eea471ac386fc0df
	.amdgpu_metadata
---
amdhsa.kernels:
  - .agpr_count:     0
    .args:
      - .actual_access:  read_only
        .address_space:  global
        .offset:         0
        .size:           8
        .value_kind:     global_buffer
      - .offset:         8
        .size:           8
        .value_kind:     by_value
      - .actual_access:  read_only
        .address_space:  global
        .offset:         16
        .size:           8
        .value_kind:     global_buffer
      - .actual_access:  read_only
        .address_space:  global
        .offset:         24
        .size:           8
        .value_kind:     global_buffer
      - .offset:         32
        .size:           8
        .value_kind:     by_value
      - .actual_access:  read_only
        .address_space:  global
        .offset:         40
        .size:           8
        .value_kind:     global_buffer
      - .actual_access:  read_only
        .address_space:  global
        .offset:         48
        .size:           8
        .value_kind:     global_buffer
      - .offset:         56
        .size:           4
        .value_kind:     by_value
      - .actual_access:  read_only
        .address_space:  global
        .offset:         64
        .size:           8
        .value_kind:     global_buffer
      - .actual_access:  read_only
        .address_space:  global
        .offset:         72
        .size:           8
        .value_kind:     global_buffer
      - .address_space:  global
        .offset:         80
        .size:           8
        .value_kind:     global_buffer
    .group_segment_fixed_size: 0
    .kernarg_segment_align: 8
    .kernarg_segment_size: 88
    .language:       OpenCL C
    .language_version:
      - 2
      - 0
    .max_flat_workgroup_size: 63
    .name:           fft_rtc_back_len1512_factors_2_2_2_3_3_3_7_wgs_63_tpt_63_halfLds_sp_ip_CI_unitstride_sbrr_dirReg
    .private_segment_fixed_size: 0
    .sgpr_count:     28
    .sgpr_spill_count: 0
    .symbol:         fft_rtc_back_len1512_factors_2_2_2_3_3_3_7_wgs_63_tpt_63_halfLds_sp_ip_CI_unitstride_sbrr_dirReg.kd
    .uniform_work_group_size: 1
    .uses_dynamic_stack: false
    .vgpr_count:     132
    .vgpr_spill_count: 0
    .wavefront_size: 64
amdhsa.target:   amdgcn-amd-amdhsa--gfx950
amdhsa.version:
  - 1
  - 2
...

	.end_amdgpu_metadata
